;; amdgpu-corpus repo=ROCm/rocFFT kind=compiled arch=gfx1201 opt=O3
	.text
	.amdgcn_target "amdgcn-amd-amdhsa--gfx1201"
	.amdhsa_code_object_version 6
	.protected	bluestein_single_back_len117_dim1_sp_op_CI_CI ; -- Begin function bluestein_single_back_len117_dim1_sp_op_CI_CI
	.globl	bluestein_single_back_len117_dim1_sp_op_CI_CI
	.p2align	8
	.type	bluestein_single_back_len117_dim1_sp_op_CI_CI,@function
bluestein_single_back_len117_dim1_sp_op_CI_CI: ; @bluestein_single_back_len117_dim1_sp_op_CI_CI
; %bb.0:
	s_load_b128 s[8:11], s[0:1], 0x28
	v_mul_u32_u24_e32 v1, 0x13b2, v0
	v_mov_b32_e32 v41, 0
	s_mov_b32 s2, exec_lo
	s_delay_alu instid0(VALU_DEP_2) | instskip(NEXT) | instid1(VALU_DEP_1)
	v_lshrrev_b32_e32 v1, 16, v1
	v_lshl_add_u32 v40, ttmp9, 2, v1
	s_wait_kmcnt 0x0
	s_delay_alu instid0(VALU_DEP_1)
	v_cmpx_gt_u64_e64 s[8:9], v[40:41]
	s_cbranch_execz .LBB0_15
; %bb.1:
	v_mul_lo_u16 v2, v1, 13
	s_clause 0x1
	s_load_b64 s[8:9], s[0:1], 0x0
	s_load_b64 s[12:13], s[0:1], 0x38
	v_and_b32_e32 v1, 3, v1
	v_sub_nc_u16 v0, v0, v2
	s_delay_alu instid0(VALU_DEP_2) | instskip(NEXT) | instid1(VALU_DEP_2)
	v_mul_u32_u24_e32 v51, 0x75, v1
	v_and_b32_e32 v50, 0xffff, v0
	v_cmp_gt_u16_e32 vcc_lo, 9, v0
	s_delay_alu instid0(VALU_DEP_3) | instskip(NEXT) | instid1(VALU_DEP_3)
	v_lshlrev_b32_e32 v52, 3, v51
	v_lshlrev_b32_e32 v49, 3, v50
	s_and_saveexec_b32 s3, vcc_lo
	s_cbranch_execz .LBB0_3
; %bb.2:
	s_load_b64 s[4:5], s[0:1], 0x18
	v_lshl_add_u32 v59, v50, 3, v52
	v_add_nc_u32_e32 v60, v52, v49
	s_wait_kmcnt 0x0
	s_load_b128 s[4:7], s[4:5], 0x0
	s_wait_kmcnt 0x0
	v_mad_co_u64_u32 v[0:1], null, s6, v40, 0
	v_mad_co_u64_u32 v[2:3], null, s4, v50, 0
	s_delay_alu instid0(VALU_DEP_1) | instskip(NEXT) | instid1(VALU_DEP_1)
	v_mad_co_u64_u32 v[4:5], null, s7, v40, v[1:2]
	v_mad_co_u64_u32 v[5:6], null, s5, v50, v[3:4]
	v_mov_b32_e32 v1, v4
	s_mul_u64 s[4:5], s[4:5], 0x48
	s_delay_alu instid0(VALU_DEP_1) | instskip(NEXT) | instid1(VALU_DEP_3)
	v_lshlrev_b64_e32 v[0:1], 3, v[0:1]
	v_mov_b32_e32 v3, v5
	s_delay_alu instid0(VALU_DEP_2) | instskip(NEXT) | instid1(VALU_DEP_2)
	v_add_co_u32 v10, s2, s10, v0
	v_lshlrev_b64_e32 v[2:3], 3, v[2:3]
	s_delay_alu instid0(VALU_DEP_4)
	v_add_co_ci_u32_e64 v11, s2, s11, v1, s2
	s_clause 0xa
	global_load_b64 v[0:1], v49, s[8:9]
	global_load_b64 v[4:5], v49, s[8:9] offset:72
	global_load_b64 v[6:7], v49, s[8:9] offset:144
	;; [unrolled: 1-line block ×10, first 2 shown]
	v_add_co_u32 v2, s2, v10, v2
	s_wait_alu 0xf1ff
	v_add_co_ci_u32_e64 v3, s2, v11, v3, s2
	s_wait_alu 0xfffe
	s_delay_alu instid0(VALU_DEP_2) | instskip(SKIP_1) | instid1(VALU_DEP_2)
	v_add_co_u32 v10, s2, v2, s4
	s_wait_alu 0xf1ff
	v_add_co_ci_u32_e64 v11, s2, s5, v3, s2
	global_load_b64 v[2:3], v[2:3], off
	v_add_co_u32 v20, s2, v10, s4
	s_wait_alu 0xf1ff
	v_add_co_ci_u32_e64 v21, s2, s5, v11, s2
	s_delay_alu instid0(VALU_DEP_2) | instskip(SKIP_1) | instid1(VALU_DEP_2)
	v_add_co_u32 v28, s2, v20, s4
	s_wait_alu 0xf1ff
	v_add_co_ci_u32_e64 v29, s2, s5, v21, s2
	s_delay_alu instid0(VALU_DEP_2) | instskip(SKIP_1) | instid1(VALU_DEP_2)
	v_add_co_u32 v30, s2, v28, s4
	s_wait_alu 0xf1ff
	v_add_co_ci_u32_e64 v31, s2, s5, v29, s2
	s_clause 0x2
	global_load_b64 v[10:11], v[10:11], off
	global_load_b64 v[20:21], v[20:21], off
	;; [unrolled: 1-line block ×3, first 2 shown]
	v_add_co_u32 v32, s2, v30, s4
	s_wait_alu 0xf1ff
	v_add_co_ci_u32_e64 v33, s2, s5, v31, s2
	global_load_b64 v[30:31], v[30:31], off
	v_add_co_u32 v34, s2, v32, s4
	s_wait_alu 0xf1ff
	v_add_co_ci_u32_e64 v35, s2, s5, v33, s2
	global_load_b64 v[32:33], v[32:33], off
	v_add_co_u32 v36, s2, v34, s4
	s_wait_alu 0xf1ff
	v_add_co_ci_u32_e64 v37, s2, s5, v35, s2
	global_load_b64 v[34:35], v[34:35], off
	v_add_co_u32 v38, s2, v36, s4
	s_wait_alu 0xf1ff
	v_add_co_ci_u32_e64 v39, s2, s5, v37, s2
	global_load_b64 v[36:37], v[36:37], off
	v_add_co_u32 v41, s2, v38, s4
	s_wait_alu 0xf1ff
	v_add_co_ci_u32_e64 v42, s2, s5, v39, s2
	global_load_b64 v[38:39], v[38:39], off
	v_add_co_u32 v43, s2, v41, s4
	s_wait_alu 0xf1ff
	v_add_co_ci_u32_e64 v44, s2, s5, v42, s2
	global_load_b64 v[41:42], v[41:42], off
	v_add_co_u32 v45, s2, v43, s4
	s_wait_alu 0xf1ff
	v_add_co_ci_u32_e64 v46, s2, s5, v44, s2
	global_load_b64 v[43:44], v[43:44], off
	v_add_co_u32 v47, s2, v45, s4
	s_wait_alu 0xf1ff
	v_add_co_ci_u32_e64 v48, s2, s5, v46, s2
	global_load_b64 v[53:54], v49, s[8:9] offset:792
	global_load_b64 v[45:46], v[45:46], off
	global_load_b64 v[55:56], v49, s[8:9] offset:864
	global_load_b64 v[47:48], v[47:48], off
	s_wait_loadcnt 0xe
	v_mul_f32_e32 v57, v3, v1
	v_mul_f32_e32 v58, v2, v1
	s_delay_alu instid0(VALU_DEP_2)
	v_fmac_f32_e32 v57, v2, v0
	s_wait_loadcnt 0xd
	v_mul_f32_e32 v1, v11, v5
	s_wait_loadcnt 0xc
	v_dual_mul_f32 v2, v10, v5 :: v_dual_mul_f32 v5, v21, v7
	v_mul_f32_e32 v7, v20, v7
	v_fma_f32 v58, v3, v0, -v58
	v_fmac_f32_e32 v1, v10, v4
	s_delay_alu instid0(VALU_DEP_4)
	v_fma_f32 v2, v11, v4, -v2
	v_fmac_f32_e32 v5, v20, v6
	v_fma_f32 v6, v21, v6, -v7
	s_wait_loadcnt 0xb
	v_mul_f32_e32 v0, v29, v9
	v_mul_f32_e32 v3, v28, v9
	ds_store_b64 v59, v[57:58]
	s_wait_loadcnt 0x9
	v_mul_f32_e32 v4, v33, v15
	v_fmac_f32_e32 v0, v28, v8
	s_delay_alu instid0(VALU_DEP_2)
	v_fmac_f32_e32 v4, v32, v14
	ds_store_2addr_b64 v60, v[1:2], v[5:6] offset0:9 offset1:18
	v_fma_f32 v1, v29, v8, -v3
	v_mul_f32_e32 v2, v31, v13
	s_wait_loadcnt 0x8
	v_mul_f32_e32 v6, v35, v17
	s_wait_loadcnt 0x7
	v_dual_mul_f32 v8, v37, v19 :: v_dual_mul_f32 v5, v30, v13
	v_mul_f32_e32 v7, v34, v17
	s_delay_alu instid0(VALU_DEP_3) | instskip(NEXT) | instid1(VALU_DEP_3)
	v_dual_mul_f32 v9, v36, v19 :: v_dual_fmac_f32 v6, v34, v16
	v_fmac_f32_e32 v8, v36, v18
	s_delay_alu instid0(VALU_DEP_4)
	v_fma_f32 v3, v31, v12, -v5
	v_dual_mul_f32 v5, v32, v15 :: v_dual_fmac_f32 v2, v30, v12
	s_wait_loadcnt 0x6
	v_mul_f32_e32 v10, v39, v23
	s_wait_loadcnt 0x5
	v_mul_f32_e32 v12, v42, v25
	v_mul_f32_e32 v13, v41, v25
	v_fma_f32 v5, v33, v14, -v5
	v_fma_f32 v7, v35, v16, -v7
	s_wait_loadcnt 0x4
	v_dual_fmac_f32 v10, v38, v22 :: v_dual_mul_f32 v15, v43, v27
	v_dual_mul_f32 v11, v38, v23 :: v_dual_fmac_f32 v12, v41, v24
	s_wait_loadcnt 0x2
	v_dual_mul_f32 v14, v44, v27 :: v_dual_mul_f32 v17, v45, v54
	v_fma_f32 v9, v37, v18, -v9
	s_wait_loadcnt 0x0
	v_dual_mul_f32 v16, v46, v54 :: v_dual_mul_f32 v19, v47, v56
	v_mul_f32_e32 v18, v48, v56
	v_fma_f32 v11, v39, v22, -v11
	v_fma_f32 v13, v42, v24, -v13
	v_fmac_f32_e32 v14, v43, v26
	v_fma_f32 v15, v44, v26, -v15
	v_fmac_f32_e32 v16, v45, v53
	v_fma_f32 v17, v46, v53, -v17
	v_fmac_f32_e32 v18, v47, v55
	v_fma_f32 v19, v48, v55, -v19
	ds_store_2addr_b64 v60, v[0:1], v[2:3] offset0:27 offset1:36
	ds_store_2addr_b64 v60, v[4:5], v[6:7] offset0:45 offset1:54
	;; [unrolled: 1-line block ×5, first 2 shown]
.LBB0_3:
	s_or_b32 exec_lo, exec_lo, s3
	s_clause 0x1
	s_load_b64 s[2:3], s[0:1], 0x20
	s_load_b64 s[4:5], s[0:1], 0x8
	v_mov_b32_e32 v8, 0
	v_mov_b32_e32 v9, 0
	global_wb scope:SCOPE_SE
	s_wait_dscnt 0x0
	s_wait_kmcnt 0x0
	s_barrier_signal -1
	s_barrier_wait -1
	global_inv scope:SCOPE_SE
                                        ; implicit-def: $vgpr22
                                        ; implicit-def: $vgpr16
                                        ; implicit-def: $vgpr12
                                        ; implicit-def: $vgpr4
                                        ; implicit-def: $vgpr26
                                        ; implicit-def: $vgpr30
	s_and_saveexec_b32 s0, vcc_lo
	s_cbranch_execz .LBB0_5
; %bb.4:
	v_lshl_add_u32 v0, v51, 3, v49
	ds_load_2addr_b64 v[8:11], v0 offset1:9
	ds_load_2addr_b64 v[28:31], v0 offset0:18 offset1:27
	ds_load_2addr_b64 v[24:27], v0 offset0:36 offset1:45
	ds_load_2addr_b64 v[20:23], v0 offset0:54 offset1:63
	ds_load_2addr_b64 v[16:19], v0 offset0:72 offset1:81
	ds_load_2addr_b64 v[12:15], v0 offset0:90 offset1:99
	ds_load_b64 v[4:5], v0 offset:864
.LBB0_5:
	s_wait_alu 0xfffe
	s_or_b32 exec_lo, exec_lo, s0
	s_wait_dscnt 0x0
	v_dual_sub_f32 v80, v11, v5 :: v_dual_sub_f32 v83, v10, v4
	v_dual_add_f32 v32, v4, v10 :: v_dual_add_f32 v33, v5, v11
	s_delay_alu instid0(VALU_DEP_2) | instskip(NEXT) | instid1(VALU_DEP_3)
	v_dual_sub_f32 v92, v24, v18 :: v_dual_mul_f32 v57, 0xbf52af12, v80
	v_mul_f32_e32 v60, 0xbf52af12, v83
	v_dual_mul_f32 v38, 0xbeedf032, v80 :: v_dual_mul_f32 v47, 0xbeedf032, v83
	v_dual_mul_f32 v67, 0xbf7e222b, v80 :: v_dual_mul_f32 v72, 0xbf7e222b, v83
	s_delay_alu instid0(VALU_DEP_3) | instskip(SKIP_1) | instid1(VALU_DEP_4)
	v_fma_f32 v3, 0x3f116cb1, v33, -v60
	v_fmamk_f32 v2, v32, 0x3f116cb1, v57
	v_fma_f32 v1, 0x3f62ad3f, v33, -v47
	v_fmamk_f32 v0, v32, 0x3f62ad3f, v38
	v_sub_f32_e32 v85, v28, v14
	s_delay_alu instid0(VALU_DEP_4) | instskip(NEXT) | instid1(VALU_DEP_3)
	v_dual_add_f32 v3, v3, v9 :: v_dual_add_f32 v2, v2, v8
	v_dual_add_f32 v1, v1, v9 :: v_dual_add_f32 v0, v0, v8
	v_add_f32_e32 v35, v15, v29
	s_delay_alu instid0(VALU_DEP_4)
	v_mul_f32_e32 v54, 0xbf52af12, v85
	v_fma_f32 v41, 0x3df6dbef, v33, -v72
	v_sub_f32_e32 v98, v21, v23
	global_wb scope:SCOPE_SE
	s_barrier_signal -1
	v_fma_f32 v36, 0x3f116cb1, v35, -v54
	v_add_f32_e32 v34, v14, v28
	s_barrier_wait -1
	global_inv scope:SCOPE_SE
	v_sub_f32_e32 v87, v31, v13
	v_dual_add_f32 v1, v36, v1 :: v_dual_sub_f32 v84, v29, v15
	v_add_f32_e32 v36, v12, v30
	v_mul_f32_e32 v64, 0xbf6f5d39, v85
	s_delay_alu instid0(VALU_DEP_4)
	v_mul_f32_e32 v48, 0xbf7e222b, v87
	v_sub_f32_e32 v88, v30, v12
	v_mul_f32_e32 v44, 0xbf52af12, v84
	v_mul_f32_e32 v78, 0x3f6f5d39, v87
	v_fma_f32 v39, 0xbeb58ec6, v35, -v64
	v_fmamk_f32 v6, v32, 0x3df6dbef, v67
	v_mul_f32_e32 v65, 0xbe750f2a, v87
	v_fmamk_f32 v7, v34, 0x3f116cb1, v44
	v_mul_f32_e32 v61, 0xbf6f5d39, v84
	s_delay_alu instid0(VALU_DEP_4) | instskip(SKIP_1) | instid1(VALU_DEP_3)
	v_dual_add_f32 v3, v39, v3 :: v_dual_add_f32 v6, v6, v8
	v_mul_f32_e32 v75, 0xbe750f2a, v84
	v_dual_add_f32 v0, v7, v0 :: v_dual_fmamk_f32 v37, v34, 0xbeb58ec6, v61
	v_fmamk_f32 v39, v36, 0x3df6dbef, v48
	v_mul_f32_e32 v71, 0xbe750f2a, v88
	v_mul_f32_e32 v90, 0x3f6f5d39, v88
	s_delay_alu instid0(VALU_DEP_4) | instskip(SKIP_4) | instid1(VALU_DEP_4)
	v_dual_mul_f32 v103, 0x3f29c268, v84 :: v_dual_add_f32 v2, v37, v2
	v_add_f32_e32 v37, v13, v31
	v_dual_fmamk_f32 v7, v34, 0xbf788fa5, v75 :: v_dual_add_f32 v0, v39, v0
	v_fmamk_f32 v43, v36, 0xbf788fa5, v65
	v_add_f32_e32 v39, v18, v24
	v_fma_f32 v45, 0xbf788fa5, v37, -v71
	s_delay_alu instid0(VALU_DEP_4) | instskip(SKIP_2) | instid1(VALU_DEP_4)
	v_add_f32_e32 v6, v7, v6
	v_mul_f32_e32 v58, 0xbf7e222b, v88
	v_dual_add_f32 v2, v43, v2 :: v_dual_sub_f32 v91, v25, v19
	v_add_f32_e32 v3, v45, v3
	v_add_f32_e32 v43, v19, v25
	s_delay_alu instid0(VALU_DEP_4) | instskip(NEXT) | instid1(VALU_DEP_4)
	v_fma_f32 v42, 0x3df6dbef, v37, -v58
	v_dual_mul_f32 v62, 0xbf6f5d39, v92 :: v_dual_mul_f32 v59, 0xbf6f5d39, v91
	v_fmamk_f32 v7, v36, 0xbeb58ec6, v78
	v_mul_f32_e32 v79, 0x3eedf032, v91
	s_delay_alu instid0(VALU_DEP_4) | instskip(NEXT) | instid1(VALU_DEP_4)
	v_add_f32_e32 v1, v42, v1
	v_fma_f32 v45, 0xbeb58ec6, v43, -v62
	v_fmamk_f32 v42, v39, 0xbeb58ec6, v59
	v_dual_mul_f32 v70, 0x3f29c268, v91 :: v_dual_sub_f32 v95, v27, v17
	v_sub_f32_e32 v97, v26, v16
	s_delay_alu instid0(VALU_DEP_3) | instskip(NEXT) | instid1(VALU_DEP_3)
	v_dual_add_f32 v1, v45, v1 :: v_dual_add_f32 v0, v42, v0
	v_dual_fmamk_f32 v46, v39, 0xbf3f9e67, v70 :: v_dual_add_f32 v45, v16, v26
	s_delay_alu instid0(VALU_DEP_4) | instskip(SKIP_1) | instid1(VALU_DEP_3)
	v_dual_mul_f32 v63, 0xbf29c268, v95 :: v_dual_add_f32 v6, v7, v6
	v_mul_f32_e32 v76, 0x3f29c268, v92
	v_add_f32_e32 v2, v46, v2
	v_add_f32_e32 v46, v17, v27
	s_delay_alu instid0(VALU_DEP_4) | instskip(SKIP_3) | instid1(VALU_DEP_4)
	v_dual_fmamk_f32 v42, v45, 0xbf3f9e67, v63 :: v_dual_sub_f32 v99, v20, v22
	v_fmamk_f32 v7, v39, 0x3f62ad3f, v79
	v_fma_f32 v53, 0xbf3f9e67, v43, -v76
	v_fma_f32 v100, 0xbeb58ec6, v37, -v90
	v_dual_add_f32 v0, v42, v0 :: v_dual_mul_f32 v69, 0x3f7e222b, v95
	s_delay_alu instid0(VALU_DEP_3) | instskip(SKIP_1) | instid1(VALU_DEP_3)
	v_dual_add_f32 v6, v7, v6 :: v_dual_add_f32 v3, v53, v3
	v_dual_add_f32 v56, v23, v21 :: v_dual_mul_f32 v81, 0xbf52af12, v95
	v_fmamk_f32 v7, v45, 0x3df6dbef, v69
	v_mul_f32_e32 v77, 0x3f7e222b, v97
	v_mul_f32_e32 v93, 0xbe750f2a, v85
	v_dual_mul_f32 v82, 0x3eedf032, v99 :: v_dual_mul_f32 v89, 0x3eedf032, v92
	s_delay_alu instid0(VALU_DEP_4) | instskip(NEXT) | instid1(VALU_DEP_4)
	v_add_f32_e32 v2, v7, v2
	v_fma_f32 v55, 0x3df6dbef, v46, -v77
	v_mul_f32_e32 v66, 0xbf29c268, v97
	v_add_f32_e32 v41, v41, v9
	v_fma_f32 v42, 0xbf788fa5, v35, -v93
	v_fmamk_f32 v7, v45, 0x3f116cb1, v81
	v_add_f32_e32 v3, v55, v3
	v_fma_f32 v53, 0xbf3f9e67, v46, -v66
	v_add_f32_e32 v55, v22, v20
	v_add_f32_e32 v96, v42, v41
	v_mul_f32_e32 v68, 0xbe750f2a, v98
	s_delay_alu instid0(VALU_DEP_4) | instskip(SKIP_2) | instid1(VALU_DEP_3)
	v_dual_mul_f32 v74, 0x3eedf032, v98 :: v_dual_add_f32 v1, v53, v1
	v_dual_mul_f32 v73, 0xbe750f2a, v99 :: v_dual_add_f32 v6, v7, v6
	v_dual_mul_f32 v104, 0x3eedf032, v87 :: v_dual_mul_f32 v107, 0x3eedf032, v88
	v_fmamk_f32 v94, v55, 0x3f62ad3f, v74
	v_fmamk_f32 v7, v55, 0xbf788fa5, v68
	s_delay_alu instid0(VALU_DEP_4)
	v_fma_f32 v53, 0xbf788fa5, v56, -v73
	v_fma_f32 v112, 0x3f62ad3f, v56, -v82
	v_mul_f32_e32 v108, 0xbf7e222b, v92
	v_add_f32_e32 v2, v94, v2
	v_dual_mul_f32 v86, 0xbf29c268, v98 :: v_dual_add_f32 v41, v7, v0
	v_add_f32_e32 v42, v53, v1
	v_add_f32_e32 v0, v100, v96
	v_fma_f32 v1, 0x3f62ad3f, v43, -v89
	s_delay_alu instid0(VALU_DEP_4)
	v_fmamk_f32 v7, v55, 0xbf3f9e67, v86
	v_add_f32_e32 v3, v112, v3
	v_mul_f32_e32 v109, 0x3e750f2a, v97
	v_mul_f32_e32 v106, 0xbf7e222b, v91
	v_dual_add_f32 v0, v1, v0 :: v_dual_mul_f32 v111, 0x3f29c268, v85
	v_mul_f32_e32 v94, 0xbf52af12, v97
	s_delay_alu instid0(VALU_DEP_4) | instskip(SKIP_1) | instid1(VALU_DEP_4)
	v_fma_f32 v114, 0xbf788fa5, v46, -v109
	v_mul_f32_e32 v105, 0x3f52af12, v99
	v_fma_f32 v101, 0xbf3f9e67, v35, -v111
	v_mul_f32_e32 v110, 0xbf6f5d39, v83
	v_fma_f32 v102, 0x3f116cb1, v46, -v94
	s_delay_alu instid0(VALU_DEP_4) | instskip(NEXT) | instid1(VALU_DEP_3)
	v_fma_f32 v117, 0x3f116cb1, v56, -v105
	v_fma_f32 v53, 0xbeb58ec6, v33, -v110
	s_delay_alu instid0(VALU_DEP_3) | instskip(SKIP_1) | instid1(VALU_DEP_3)
	v_add_f32_e32 v113, v102, v0
	v_fma_f32 v102, 0x3df6dbef, v43, -v108
	v_add_f32_e32 v53, v53, v9
	s_delay_alu instid0(VALU_DEP_1) | instskip(SKIP_3) | instid1(VALU_DEP_1)
	v_add_f32_e32 v53, v101, v53
	v_fma_f32 v101, 0x3f62ad3f, v37, -v107
	v_fmamk_f32 v96, v34, 0xbf3f9e67, v103
	v_mul_f32_e32 v100, 0xbf6f5d39, v80
	v_fmamk_f32 v1, v32, 0xbeb58ec6, v100
	s_delay_alu instid0(VALU_DEP_1) | instskip(NEXT) | instid1(VALU_DEP_1)
	v_add_f32_e32 v1, v1, v8
	v_add_f32_e32 v1, v96, v1
	v_fmamk_f32 v96, v36, 0x3f62ad3f, v104
	s_delay_alu instid0(VALU_DEP_1) | instskip(SKIP_1) | instid1(VALU_DEP_1)
	v_add_f32_e32 v0, v96, v1
	v_dual_add_f32 v1, v101, v53 :: v_dual_mul_f32 v96, 0xbf29c268, v99
	v_dual_add_f32 v1, v102, v1 :: v_dual_mul_f32 v102, 0x3f52af12, v98
	v_fmamk_f32 v53, v39, 0x3df6dbef, v106
	s_delay_alu instid0(VALU_DEP_3) | instskip(NEXT) | instid1(VALU_DEP_3)
	v_fma_f32 v115, 0xbf3f9e67, v56, -v96
	v_add_f32_e32 v114, v114, v1
	s_delay_alu instid0(VALU_DEP_4) | instskip(NEXT) | instid1(VALU_DEP_4)
	v_fmamk_f32 v116, v55, 0x3f116cb1, v102
	v_dual_mul_f32 v101, 0x3e750f2a, v95 :: v_dual_add_f32 v0, v53, v0
	s_delay_alu instid0(VALU_DEP_4) | instskip(NEXT) | instid1(VALU_DEP_2)
	v_add_f32_e32 v1, v115, v113
	v_fmamk_f32 v53, v45, 0xbf788fa5, v101
	s_delay_alu instid0(VALU_DEP_1) | instskip(NEXT) | instid1(VALU_DEP_1)
	v_dual_add_f32 v53, v53, v0 :: v_dual_add_f32 v0, v7, v6
	v_dual_add_f32 v7, v117, v114 :: v_dual_add_f32 v6, v116, v53
	v_mul_lo_u16 v53, v50, 13
	s_and_saveexec_b32 s0, vcc_lo
	s_cbranch_execz .LBB0_7
; %bb.6:
	v_mul_f32_e32 v117, 0x3eedf032, v84
	v_dual_mul_f32 v118, 0xbf29c268, v88 :: v_dual_mul_f32 v119, 0xbf29c268, v87
	v_mul_f32_e32 v126, 0x3f7e222b, v99
	v_mul_f32_e32 v127, 0xbf29c268, v83
	s_delay_alu instid0(VALU_DEP_4) | instskip(SKIP_3) | instid1(VALU_DEP_3)
	v_fma_f32 v122, 0x3f62ad3f, v34, -v117
	v_mul_f32_e32 v116, 0xbe750f2a, v80
	v_dual_mul_f32 v120, 0x3f52af12, v92 :: v_dual_mul_f32 v123, 0x3f52af12, v91
	v_dual_mul_f32 v128, 0x3f7e222b, v98 :: v_dual_mul_f32 v129, 0x3f7e222b, v84
	v_fma_f32 v113, 0xbf788fa5, v32, -v116
	v_mul_f32_e32 v114, 0xbe750f2a, v83
	v_mul_f32_e32 v131, 0xbeb58ec6, v33
	v_dual_mul_f32 v92, 0x3e750f2a, v92 :: v_dual_mul_f32 v91, 0x3e750f2a, v91
	s_delay_alu instid0(VALU_DEP_4) | instskip(NEXT) | instid1(VALU_DEP_4)
	v_add_f32_e32 v113, v113, v8
	v_fmamk_f32 v112, v33, 0xbf788fa5, v114
	v_mul_f32_e32 v80, 0xbf29c268, v80
	v_mul_f32_e32 v130, 0xbf52af12, v87
	s_delay_alu instid0(VALU_DEP_4) | instskip(NEXT) | instid1(VALU_DEP_4)
	v_dual_mul_f32 v98, 0xbf6f5d39, v98 :: v_dual_add_f32 v113, v122, v113
	v_add_f32_e32 v112, v112, v9
	v_mul_f32_e32 v115, 0x3eedf032, v85
	v_mul_f32_e32 v85, 0x3f7e222b, v85
	v_fmamk_f32 v83, v56, 0x3df6dbef, v126
	v_fmamk_f32 v124, v37, 0xbf3f9e67, v118
	v_mul_f32_e32 v122, 0xbf6f5d39, v97
	v_fmamk_f32 v121, v35, 0x3f62ad3f, v115
	v_mul_f32_e32 v97, 0x3eedf032, v97
	v_dual_fmac_f32 v117, 0x3f62ad3f, v34 :: v_dual_add_f32 v10, v10, v8
	v_fmac_f32_e32 v116, 0xbf788fa5, v32
	s_delay_alu instid0(VALU_DEP_4) | instskip(SKIP_1) | instid1(VALU_DEP_4)
	v_add_f32_e32 v112, v121, v112
	v_fma_f32 v121, 0xbf3f9e67, v36, -v119
	v_dual_fmac_f32 v119, 0xbf3f9e67, v36 :: v_dual_add_f32 v10, v28, v10
	s_delay_alu instid0(VALU_DEP_3) | instskip(SKIP_1) | instid1(VALU_DEP_4)
	v_add_f32_e32 v112, v124, v112
	v_fma_f32 v124, 0x3f116cb1, v39, -v123
	v_add_f32_e32 v113, v121, v113
	v_mul_f32_e32 v121, 0xbf6f5d39, v95
	v_mul_f32_e32 v95, 0x3eedf032, v95
	v_fmac_f32_e32 v123, 0x3f116cb1, v39
	s_delay_alu instid0(VALU_DEP_4) | instskip(NEXT) | instid1(VALU_DEP_4)
	v_add_f32_e32 v113, v124, v113
	v_fma_f32 v124, 0xbeb58ec6, v45, -v121
	v_fmamk_f32 v125, v43, 0x3f116cb1, v120
	v_fmac_f32_e32 v121, 0xbeb58ec6, v45
	s_delay_alu instid0(VALU_DEP_3) | instskip(NEXT) | instid1(VALU_DEP_3)
	v_add_f32_e32 v124, v124, v113
	v_dual_add_f32 v112, v125, v112 :: v_dual_fmamk_f32 v125, v46, 0xbeb58ec6, v122
	s_delay_alu instid0(VALU_DEP_1) | instskip(SKIP_1) | instid1(VALU_DEP_1)
	v_add_f32_e32 v112, v125, v112
	v_fmamk_f32 v125, v33, 0xbf3f9e67, v127
	v_dual_add_f32 v84, v125, v9 :: v_dual_add_f32 v113, v83, v112
	v_fma_f32 v83, 0xbf3f9e67, v32, -v80
	v_mul_f32_e32 v125, 0xbf52af12, v88
	v_fma_f32 v88, 0x3df6dbef, v34, -v129
	v_fmac_f32_e32 v129, 0x3df6dbef, v34
	v_fmac_f32_e32 v80, 0xbf3f9e67, v32
	v_add_f32_e32 v83, v83, v8
	s_delay_alu instid0(VALU_DEP_1) | instskip(NEXT) | instid1(VALU_DEP_1)
	v_dual_fmamk_f32 v112, v35, 0x3df6dbef, v85 :: v_dual_add_f32 v83, v88, v83
	v_add_f32_e32 v84, v112, v84
	v_fma_f32 v88, 0x3f116cb1, v36, -v130
	v_fma_f32 v112, 0x3df6dbef, v55, -v128
	v_fmamk_f32 v87, v37, 0x3f116cb1, v125
	v_fmac_f32_e32 v128, 0x3df6dbef, v55
	v_fmac_f32_e32 v130, 0x3f116cb1, v36
	s_delay_alu instid0(VALU_DEP_4) | instskip(NEXT) | instid1(VALU_DEP_4)
	v_add_f32_e32 v112, v112, v124
	v_dual_add_f32 v84, v87, v84 :: v_dual_add_f32 v83, v88, v83
	v_fma_f32 v88, 0xbf788fa5, v39, -v91
	v_fmac_f32_e32 v91, 0xbf788fa5, v39
	s_delay_alu instid0(VALU_DEP_2) | instskip(SKIP_1) | instid1(VALU_DEP_1)
	v_add_f32_e32 v83, v88, v83
	v_fma_f32 v88, 0x3f62ad3f, v45, -v95
	v_add_f32_e32 v83, v88, v83
	v_dual_add_f32 v88, v110, v131 :: v_dual_fmamk_f32 v87, v43, 0xbf788fa5, v92
	v_mul_f32_e32 v110, 0xbeb58ec6, v32
	s_delay_alu instid0(VALU_DEP_2) | instskip(NEXT) | instid1(VALU_DEP_3)
	v_add_f32_e32 v88, v88, v9
	v_dual_add_f32 v84, v87, v84 :: v_dual_fmamk_f32 v87, v46, 0x3f62ad3f, v97
	s_delay_alu instid0(VALU_DEP_3) | instskip(SKIP_1) | instid1(VALU_DEP_3)
	v_dual_sub_f32 v100, v110, v100 :: v_dual_mul_f32 v99, 0xbf6f5d39, v99
	v_mul_f32_e32 v110, 0x3f62ad3f, v36
	v_add_f32_e32 v84, v87, v84
	s_delay_alu instid0(VALU_DEP_3) | instskip(NEXT) | instid1(VALU_DEP_4)
	v_dual_add_f32 v100, v100, v8 :: v_dual_mul_f32 v87, 0xbf3f9e67, v35
	v_fmamk_f32 v124, v56, 0xbeb58ec6, v99
	s_delay_alu instid0(VALU_DEP_4) | instskip(NEXT) | instid1(VALU_DEP_3)
	v_dual_sub_f32 v104, v110, v104 :: v_dual_fmac_f32 v95, 0x3f62ad3f, v45
	v_add_f32_e32 v87, v111, v87
	s_delay_alu instid0(VALU_DEP_3) | instskip(NEXT) | instid1(VALU_DEP_2)
	v_dual_mul_f32 v111, 0x3f62ad3f, v37 :: v_dual_add_f32 v84, v124, v84
	v_add_f32_e32 v87, v87, v88
	s_delay_alu instid0(VALU_DEP_2) | instskip(SKIP_2) | instid1(VALU_DEP_3)
	v_add_f32_e32 v88, v107, v111
	v_mul_f32_e32 v107, 0x3df6dbef, v43
	v_mul_f32_e32 v131, 0xbf3f9e67, v34
	v_add_f32_e32 v87, v88, v87
	s_delay_alu instid0(VALU_DEP_3) | instskip(NEXT) | instid1(VALU_DEP_3)
	v_add_f32_e32 v88, v108, v107
	v_sub_f32_e32 v103, v131, v103
	v_mul_f32_e32 v107, 0x3df6dbef, v39
	v_fma_f32 v108, 0xbeb58ec6, v55, -v98
	v_fmac_f32_e32 v98, 0xbeb58ec6, v55
	s_delay_alu instid0(VALU_DEP_4) | instskip(NEXT) | instid1(VALU_DEP_1)
	v_dual_add_f32 v100, v103, v100 :: v_dual_mul_f32 v103, 0xbf788fa5, v46
	v_add_f32_e32 v100, v104, v100
	v_dual_mul_f32 v104, 0xbf788fa5, v45 :: v_dual_add_f32 v87, v88, v87
	s_delay_alu instid0(VALU_DEP_3) | instskip(NEXT) | instid1(VALU_DEP_1)
	v_add_f32_e32 v88, v109, v103
	v_dual_add_f32 v87, v88, v87 :: v_dual_mul_f32 v88, 0x3df6dbef, v33
	v_sub_f32_e32 v103, v107, v106
	s_delay_alu instid0(VALU_DEP_4) | instskip(NEXT) | instid1(VALU_DEP_2)
	v_dual_sub_f32 v101, v104, v101 :: v_dual_mul_f32 v104, 0xbf788fa5, v35
	v_add_f32_e32 v100, v103, v100
	v_mul_f32_e32 v103, 0x3f116cb1, v56
	v_add_f32_e32 v72, v72, v88
	v_mul_f32_e32 v88, 0x3f116cb1, v55
	s_delay_alu instid0(VALU_DEP_4) | instskip(NEXT) | instid1(VALU_DEP_4)
	v_dual_add_f32 v83, v108, v83 :: v_dual_add_f32 v100, v101, v100
	v_add_f32_e32 v103, v105, v103
	s_delay_alu instid0(VALU_DEP_4) | instskip(NEXT) | instid1(VALU_DEP_4)
	v_dual_add_f32 v93, v93, v104 :: v_dual_add_f32 v72, v72, v9
	v_dual_sub_f32 v101, v88, v102 :: v_dual_mul_f32 v104, 0xbeb58ec6, v37
	v_mul_f32_e32 v102, 0x3df6dbef, v32
	s_delay_alu instid0(VALU_DEP_4) | instskip(NEXT) | instid1(VALU_DEP_4)
	v_add_f32_e32 v88, v103, v87
	v_dual_add_f32 v72, v93, v72 :: v_dual_mul_f32 v93, 0xbf788fa5, v34
	s_delay_alu instid0(VALU_DEP_4) | instskip(NEXT) | instid1(VALU_DEP_4)
	v_add_f32_e32 v90, v90, v104
	v_sub_f32_e32 v67, v102, v67
	v_dual_add_f32 v87, v101, v100 :: v_dual_mul_f32 v100, 0x3f62ad3f, v43
	s_delay_alu instid0(VALU_DEP_3) | instskip(SKIP_1) | instid1(VALU_DEP_4)
	v_dual_sub_f32 v75, v93, v75 :: v_dual_add_f32 v72, v90, v72
	v_mul_f32_e32 v90, 0xbeb58ec6, v36
	v_add_f32_e32 v67, v67, v8
	s_delay_alu instid0(VALU_DEP_2) | instskip(NEXT) | instid1(VALU_DEP_2)
	v_dual_add_f32 v89, v89, v100 :: v_dual_sub_f32 v78, v90, v78
	v_dual_mul_f32 v90, 0x3f62ad3f, v33 :: v_dual_add_f32 v67, v75, v67
	s_delay_alu instid0(VALU_DEP_2) | instskip(NEXT) | instid1(VALU_DEP_2)
	v_dual_mul_f32 v75, 0x3f116cb1, v46 :: v_dual_add_f32 v72, v89, v72
	v_add_f32_e32 v47, v47, v90
	s_delay_alu instid0(VALU_DEP_3) | instskip(NEXT) | instid1(VALU_DEP_3)
	v_dual_add_f32 v67, v78, v67 :: v_dual_mul_f32 v78, 0xbf3f9e67, v56
	v_dual_add_f32 v75, v94, v75 :: v_dual_mul_f32 v94, 0x3f116cb1, v32
	v_mul_f32_e32 v89, 0x3f62ad3f, v39
	s_delay_alu instid0(VALU_DEP_3) | instskip(NEXT) | instid1(VALU_DEP_3)
	v_dual_mul_f32 v93, 0x3f62ad3f, v32 :: v_dual_add_f32 v78, v96, v78
	v_add_f32_e32 v72, v75, v72
	s_delay_alu instid0(VALU_DEP_3) | instskip(SKIP_1) | instid1(VALU_DEP_2)
	v_dual_mul_f32 v96, 0x3f116cb1, v45 :: v_dual_sub_f32 v79, v89, v79
	v_dual_mul_f32 v100, 0xbf3f9e67, v43 :: v_dual_sub_f32 v57, v94, v57
	v_dual_add_f32 v72, v78, v72 :: v_dual_sub_f32 v81, v96, v81
	v_mul_f32_e32 v96, 0xbf3f9e67, v55
	s_delay_alu instid0(VALU_DEP_4) | instskip(NEXT) | instid1(VALU_DEP_4)
	v_add_f32_e32 v67, v79, v67
	v_dual_mul_f32 v79, 0xbeb58ec6, v35 :: v_dual_add_f32 v76, v76, v100
	v_mul_f32_e32 v78, 0xbeb58ec6, v39
	s_delay_alu instid0(VALU_DEP_4) | instskip(NEXT) | instid1(VALU_DEP_3)
	v_dual_sub_f32 v86, v96, v86 :: v_dual_mul_f32 v89, 0x3f116cb1, v33
	v_dual_add_f32 v64, v64, v79 :: v_dual_mul_f32 v75, 0x3f116cb1, v34
	v_mul_f32_e32 v79, 0xbeb58ec6, v34
	v_mul_f32_e32 v96, 0x3df6dbef, v36
	s_delay_alu instid0(VALU_DEP_4) | instskip(SKIP_1) | instid1(VALU_DEP_4)
	v_dual_add_f32 v60, v60, v89 :: v_dual_add_f32 v57, v57, v8
	v_add_f32_e32 v47, v47, v9
	v_sub_f32_e32 v61, v79, v61
	s_delay_alu instid0(VALU_DEP_3) | instskip(SKIP_3) | instid1(VALU_DEP_4)
	v_dual_mul_f32 v79, 0xbf3f9e67, v46 :: v_dual_add_f32 v60, v60, v9
	v_add_f32_e32 v67, v81, v67
	v_mul_f32_e32 v81, 0xbf788fa5, v37
	v_mul_f32_e32 v89, 0x3f116cb1, v35
	v_dual_add_f32 v57, v61, v57 :: v_dual_add_f32 v60, v64, v60
	v_mul_f32_e32 v64, 0x3df6dbef, v37
	s_delay_alu instid0(VALU_DEP_4) | instskip(SKIP_3) | instid1(VALU_DEP_4)
	v_add_f32_e32 v81, v71, v81
	v_dual_add_f32 v71, v86, v67 :: v_dual_mul_f32 v86, 0x3df6dbef, v46
	v_mul_f32_e32 v67, 0xbf788fa5, v36
	v_mul_f32_e32 v94, 0xbf3f9e67, v39
	v_dual_add_f32 v60, v81, v60 :: v_dual_mul_f32 v81, 0xbeb58ec6, v43
	s_delay_alu instid0(VALU_DEP_4) | instskip(NEXT) | instid1(VALU_DEP_2)
	v_dual_add_f32 v77, v77, v86 :: v_dual_mul_f32 v86, 0x3df6dbef, v45
	v_dual_sub_f32 v65, v67, v65 :: v_dual_add_f32 v60, v76, v60
	v_dual_mul_f32 v67, 0xbf788fa5, v56 :: v_dual_add_f32 v54, v54, v89
	v_mul_f32_e32 v76, 0xbf3f9e67, v45
	s_delay_alu instid0(VALU_DEP_3) | instskip(SKIP_1) | instid1(VALU_DEP_4)
	v_dual_mul_f32 v61, 0xbf788fa5, v55 :: v_dual_add_f32 v60, v77, v60
	v_mul_f32_e32 v77, 0x3f62ad3f, v56
	v_add_f32_e32 v47, v54, v47
	v_dual_add_f32 v54, v58, v64 :: v_dual_add_f32 v57, v65, v57
	v_dual_sub_f32 v65, v94, v70 :: v_dual_add_f32 v70, v11, v9
	s_delay_alu instid0(VALU_DEP_4) | instskip(NEXT) | instid1(VALU_DEP_2)
	v_dual_add_f32 v77, v82, v77 :: v_dual_mul_f32 v82, 0x3f62ad3f, v55
	v_add_f32_e32 v57, v65, v57
	s_delay_alu instid0(VALU_DEP_3) | instskip(NEXT) | instid1(VALU_DEP_3)
	v_add_f32_e32 v29, v29, v70
	v_dual_add_f32 v11, v77, v60 :: v_dual_sub_f32 v60, v86, v69
	s_delay_alu instid0(VALU_DEP_2) | instskip(NEXT) | instid1(VALU_DEP_2)
	v_add_f32_e32 v29, v31, v29
	v_add_f32_e32 v28, v60, v57
	s_delay_alu instid0(VALU_DEP_2) | instskip(SKIP_2) | instid1(VALU_DEP_3)
	v_add_f32_e32 v25, v25, v29
	v_add_f32_e32 v29, v30, v10
	v_add_f32_e32 v30, v62, v81
	v_add_f32_e32 v25, v27, v25
	s_delay_alu instid0(VALU_DEP_3) | instskip(NEXT) | instid1(VALU_DEP_1)
	v_dual_add_f32 v24, v24, v29 :: v_dual_add_f32 v29, v66, v79
	v_dual_add_f32 v21, v21, v25 :: v_dual_add_f32 v24, v26, v24
	v_sub_f32_e32 v25, v75, v44
	v_add_f32_e32 v47, v54, v47
	s_delay_alu instid0(VALU_DEP_3) | instskip(NEXT) | instid1(VALU_DEP_4)
	v_add_f32_e32 v21, v23, v21
	v_add_f32_e32 v23, v20, v24
	s_delay_alu instid0(VALU_DEP_2) | instskip(NEXT) | instid1(VALU_DEP_2)
	v_add_f32_e32 v17, v17, v21
	v_add_f32_e32 v21, v22, v23
	v_fma_f32 v22, 0xbf788fa5, v33, -v114
	s_delay_alu instid0(VALU_DEP_2) | instskip(SKIP_1) | instid1(VALU_DEP_2)
	v_add_f32_e32 v16, v16, v21
	v_fma_f32 v21, 0x3f62ad3f, v35, -v115
	v_add_f32_e32 v16, v18, v16
	v_add_f32_e32 v27, v30, v47
	v_fma_f32 v18, 0xbf3f9e67, v37, -v118
	s_delay_alu instid0(VALU_DEP_3) | instskip(NEXT) | instid1(VALU_DEP_3)
	v_dual_add_f32 v12, v12, v16 :: v_dual_sub_f32 v31, v82, v74
	v_add_f32_e32 v26, v29, v27
	v_add_f32_e32 v27, v73, v67
	v_fma_f32 v16, 0x3f116cb1, v43, -v120
	s_delay_alu instid0(VALU_DEP_4)
	v_add_f32_e32 v12, v14, v12
	v_add_f32_e32 v10, v31, v28
	v_sub_f32_e32 v28, v93, v38
	v_fma_f32 v14, 0xbeb58ec6, v46, -v122
	v_add_f32_e32 v20, v27, v26
	v_dual_add_f32 v4, v4, v12 :: v_dual_add_f32 v17, v19, v17
	s_delay_alu instid0(VALU_DEP_4) | instskip(SKIP_1) | instid1(VALU_DEP_3)
	v_dual_add_f32 v19, v22, v9 :: v_dual_add_f32 v28, v28, v8
	v_fma_f32 v12, 0xbf3f9e67, v33, -v127
	v_add_f32_e32 v13, v13, v17
	s_delay_alu instid0(VALU_DEP_3) | instskip(NEXT) | instid1(VALU_DEP_3)
	v_add_f32_e32 v17, v21, v19
	v_add_f32_e32 v9, v12, v9
	v_fma_f32 v12, 0x3df6dbef, v35, -v85
	s_delay_alu instid0(VALU_DEP_4) | instskip(NEXT) | instid1(VALU_DEP_4)
	v_add_f32_e32 v13, v15, v13
	v_add_f32_e32 v15, v18, v17
	v_fma_f32 v17, 0xbeb58ec6, v56, -v99
	s_delay_alu instid0(VALU_DEP_4) | instskip(NEXT) | instid1(VALU_DEP_4)
	v_add_f32_e32 v9, v12, v9
	v_add_f32_e32 v5, v5, v13
	s_delay_alu instid0(VALU_DEP_4) | instskip(SKIP_4) | instid1(VALU_DEP_4)
	v_add_f32_e32 v13, v16, v15
	v_add_f32_e32 v15, v116, v8
	;; [unrolled: 1-line block ×3, first 2 shown]
	v_fma_f32 v12, 0x3f116cb1, v37, -v125
	v_and_b32_e32 v16, 0xffff, v53
	v_dual_add_f32 v13, v14, v13 :: v_dual_add_f32 v14, v117, v15
	v_add_f32_e32 v24, v25, v28
	s_delay_alu instid0(VALU_DEP_4) | instskip(SKIP_1) | instid1(VALU_DEP_4)
	v_dual_add_f32 v8, v129, v8 :: v_dual_add_f32 v9, v12, v9
	v_fma_f32 v12, 0xbf788fa5, v43, -v92
	v_dual_add_f32 v14, v119, v14 :: v_dual_sub_f32 v25, v96, v48
	s_delay_alu instid0(VALU_DEP_3) | instskip(SKIP_1) | instid1(VALU_DEP_3)
	v_add_f32_e32 v8, v130, v8
	v_fma_f32 v15, 0x3df6dbef, v56, -v126
	v_dual_add_f32 v9, v12, v9 :: v_dual_add_f32 v14, v123, v14
	s_delay_alu instid0(VALU_DEP_4)
	v_dual_add_f32 v23, v25, v24 :: v_dual_sub_f32 v24, v78, v59
	v_fma_f32 v12, 0x3f62ad3f, v46, -v97
	v_add_f32_e32 v8, v91, v8
	v_sub_f32_e32 v21, v61, v68
	v_add_f32_e32 v14, v121, v14
	v_add_f32_e32 v22, v24, v23
	;; [unrolled: 1-line block ×3, first 2 shown]
	v_dual_sub_f32 v23, v76, v63 :: v_dual_add_f32 v18, v95, v8
	v_add_lshl_u32 v16, v51, v16, 3
	v_dual_add_f32 v9, v15, v13 :: v_dual_add_f32 v8, v128, v14
	s_delay_alu instid0(VALU_DEP_3) | instskip(NEXT) | instid1(VALU_DEP_4)
	v_add_f32_e32 v19, v23, v22
	v_dual_add_f32 v13, v17, v12 :: v_dual_add_f32 v12, v98, v18
	s_delay_alu instid0(VALU_DEP_2)
	v_add_f32_e32 v19, v21, v19
	ds_store_2addr_b64 v16, v[4:5], v[19:20] offset1:1
	ds_store_2addr_b64 v16, v[10:11], v[71:72] offset0:2 offset1:3
	ds_store_2addr_b64 v16, v[87:88], v[83:84] offset0:4 offset1:5
	;; [unrolled: 1-line block ×5, first 2 shown]
	ds_store_b64 v16, v[41:42] offset:96
.LBB0_7:
	s_wait_alu 0xfffe
	s_or_b32 exec_lo, exec_lo, s0
	v_lshlrev_b32_e32 v4, 6, v50
	s_load_b128 s[0:3], s[2:3], 0x0
	global_wb scope:SCOPE_SE
	s_wait_dscnt 0x0
	s_wait_kmcnt 0x0
	s_barrier_signal -1
	s_barrier_wait -1
	global_inv scope:SCOPE_SE
	s_clause 0x3
	global_load_b128 v[20:23], v4, s[4:5]
	global_load_b128 v[16:19], v4, s[4:5] offset:16
	global_load_b128 v[12:15], v4, s[4:5] offset:32
	;; [unrolled: 1-line block ×3, first 2 shown]
	v_add_lshl_u32 v55, v51, v50, 3
	ds_load_2addr_b64 v[24:27], v55 offset1:13
	ds_load_2addr_b64 v[28:31], v55 offset0:26 offset1:39
	ds_load_2addr_b64 v[32:35], v55 offset0:52 offset1:65
	;; [unrolled: 1-line block ×3, first 2 shown]
	ds_load_b64 v[4:5], v55 offset:832
	v_lshl_add_u32 v54, v50, 3, v52
	s_wait_loadcnt_dscnt 0x304
	v_mul_f32_e32 v43, v27, v21
	s_wait_dscnt 0x3
	v_dual_mul_f32 v44, v26, v21 :: v_dual_mul_f32 v45, v29, v23
	s_wait_loadcnt 0x2
	v_dual_mul_f32 v46, v28, v23 :: v_dual_mul_f32 v47, v31, v17
	s_wait_dscnt 0x2
	v_dual_mul_f32 v48, v30, v17 :: v_dual_mul_f32 v57, v32, v19
	s_wait_loadcnt 0x1
	v_dual_mul_f32 v56, v33, v19 :: v_dual_mul_f32 v59, v34, v13
	;; [unrolled: 4-line block ×3, first 2 shown]
	s_wait_dscnt 0x0
	v_dual_mul_f32 v62, v39, v9 :: v_dual_mul_f32 v65, v4, v11
	v_dual_mul_f32 v64, v5, v11 :: v_dual_fmac_f32 v59, v35, v12
	v_fma_f32 v26, v26, v20, -v43
	v_dual_fmac_f32 v44, v27, v20 :: v_dual_fmac_f32 v57, v33, v18
	v_fma_f32 v27, v28, v22, -v45
	v_dual_fmac_f32 v46, v29, v22 :: v_dual_fmac_f32 v63, v39, v8
	;; [unrolled: 2-line block ×3, first 2 shown]
	v_fma_f32 v29, v32, v18, -v56
	v_fma_f32 v32, v34, v12, -v58
	;; [unrolled: 1-line block ×5, first 2 shown]
	v_dual_fmac_f32 v61, v37, v14 :: v_dual_add_f32 v34, v44, v65
	v_add_f32_e32 v36, v46, v63
	s_delay_alu instid0(VALU_DEP_4) | instskip(NEXT) | instid1(VALU_DEP_4)
	v_add_f32_e32 v33, v26, v4
	v_add_f32_e32 v35, v27, v5
	v_dual_add_f32 v37, v28, v30 :: v_dual_sub_f32 v4, v26, v4
	v_sub_f32_e32 v26, v44, v65
	v_dual_sub_f32 v5, v27, v5 :: v_dual_sub_f32 v28, v28, v30
	v_sub_f32_e32 v27, v46, v63
	v_sub_f32_e32 v43, v29, v32
	v_dual_add_f32 v45, v29, v32 :: v_dual_fmamk_f32 v58, v34, 0x3f441b7d, v25
	v_dual_add_f32 v46, v57, v59 :: v_dual_mul_f32 v47, 0x3f248dbb, v4
	v_add_f32_e32 v38, v48, v61
	v_dual_sub_f32 v39, v48, v61 :: v_dual_sub_f32 v44, v57, v59
	v_mul_f32_e32 v48, 0x3f248dbb, v26
	s_delay_alu instid0(VALU_DEP_4) | instskip(NEXT) | instid1(VALU_DEP_3)
	v_dual_fmamk_f32 v56, v33, 0x3f441b7d, v24 :: v_dual_fmamk_f32 v63, v46, 0x3f441b7d, v25
	v_dual_mul_f32 v60, 0xbf248dbb, v43 :: v_dual_mul_f32 v61, 0xbf248dbb, v44
	v_dual_fmamk_f32 v62, v45, 0x3f441b7d, v24 :: v_dual_add_f32 v65, v44, v26
	v_dual_add_f32 v64, v43, v4 :: v_dual_add_f32 v31, v38, v25
	v_dual_fmamk_f32 v70, v35, 0x3f441b7d, v24 :: v_dual_fmamk_f32 v71, v36, 0x3f441b7d, v25
	v_dual_add_f32 v30, v37, v24 :: v_dual_add_f32 v67, v36, v34
	v_dual_add_f32 v66, v35, v33 :: v_dual_mul_f32 v69, 0x3f7c1c5c, v44
	v_dual_mul_f32 v68, 0x3f7c1c5c, v43 :: v_dual_fmac_f32 v47, 0x3f7c1c5c, v5
	v_dual_fmac_f32 v56, 0x3e31d0d4, v35 :: v_dual_fmac_f32 v63, 0x3e31d0d4, v34
	v_dual_fmac_f32 v58, 0x3e31d0d4, v36 :: v_dual_sub_f32 v65, v65, v27
	v_dual_fmac_f32 v60, 0x3f7c1c5c, v4 :: v_dual_add_f32 v73, v46, v67
	v_dual_fmac_f32 v62, 0x3e31d0d4, v33 :: v_dual_add_f32 v67, v38, v67
	v_dual_sub_f32 v64, v64, v5 :: v_dual_fmac_f32 v71, 0x3e31d0d4, v46
	v_dual_fmac_f32 v48, 0x3f7c1c5c, v27 :: v_dual_fmac_f32 v61, 0x3f7c1c5c, v26
	v_dual_add_f32 v72, v45, v66 :: v_dual_fmac_f32 v47, 0x3f5db3d7, v28
	v_fma_f32 v68, 0xbf248dbb, v5, -v68
	v_fma_f32 v69, 0xbf248dbb, v27, -v69
	s_delay_alu instid0(VALU_DEP_4) | instskip(SKIP_1) | instid1(VALU_DEP_3)
	v_dual_add_f32 v66, v37, v66 :: v_dual_fmac_f32 v61, 0xbf5db3d7, v39
	v_dual_fmac_f32 v70, 0x3e31d0d4, v45 :: v_dual_fmac_f32 v63, -0.5, v38
	v_dual_fmac_f32 v56, -0.5, v37 :: v_dual_fmac_f32 v69, 0x3f5db3d7, v39
	v_dual_fmac_f32 v58, -0.5, v38 :: v_dual_fmac_f32 v31, -0.5, v73
	v_fmac_f32_e32 v60, 0xbf5db3d7, v28
	v_dual_fmac_f32 v62, -0.5, v37 :: v_dual_fmac_f32 v71, -0.5, v38
	v_dual_fmac_f32 v48, 0x3f5db3d7, v39 :: v_dual_mul_f32 v75, 0x3f5db3d7, v65
	v_dual_fmac_f32 v30, -0.5, v72 :: v_dual_fmac_f32 v47, 0x3eaf1d44, v43
	v_dual_fmac_f32 v70, -0.5, v37 :: v_dual_fmac_f32 v63, 0xbf708fb2, v36
	s_delay_alu instid0(VALU_DEP_4)
	v_dual_fmac_f32 v56, 0xbf708fb2, v45 :: v_dual_fmac_f32 v71, 0xbf708fb2, v34
	v_fmac_f32_e32 v58, 0xbf708fb2, v46
	v_fmac_f32_e32 v68, 0x3f5db3d7, v28
	v_dual_add_f32 v28, v29, v66 :: v_dual_fmac_f32 v61, 0x3eaf1d44, v27
	v_dual_add_f32 v29, v57, v67 :: v_dual_fmac_f32 v60, 0x3eaf1d44, v5
	v_mul_f32_e32 v74, 0x3f5db3d7, v64
	v_dual_fmac_f32 v48, 0x3eaf1d44, v44 :: v_dual_fmac_f32 v69, 0x3eaf1d44, v26
	s_delay_alu instid0(VALU_DEP_3) | instskip(NEXT) | instid1(VALU_DEP_4)
	v_dual_add_f32 v5, v59, v29 :: v_dual_fmac_f32 v62, 0xbf708fb2, v35
	v_dual_fmac_f32 v70, 0xbf708fb2, v33 :: v_dual_sub_f32 v29, v63, v60
	v_sub_f32_e32 v27, v58, v47
	s_delay_alu instid0(VALU_DEP_3)
	v_dual_add_f32 v25, v5, v25 :: v_dual_fmac_f32 v68, 0x3eaf1d44, v4
	v_fmac_f32_e32 v30, 0x3f5db3d7, v65
	v_fmac_f32_e32 v31, 0xbf5db3d7, v64
	v_add_f32_e32 v4, v32, v28
	v_add_f32_e32 v28, v61, v62
	;; [unrolled: 1-line block ×3, first 2 shown]
	v_dual_add_f32 v36, v69, v70 :: v_dual_sub_f32 v37, v71, v68
	v_fma_f32 v32, -2.0, v75, v30
	v_fma_f32 v33, 2.0, v74, v31
	v_add_f32_e32 v24, v4, v24
	v_fma_f32 v4, -2.0, v48, v26
	v_fma_f32 v34, -2.0, v61, v28
	;; [unrolled: 1-line block ×3, first 2 shown]
	v_fma_f32 v39, 2.0, v68, v37
	v_fma_f32 v35, 2.0, v60, v29
	;; [unrolled: 1-line block ×3, first 2 shown]
	ds_store_2addr_b64 v54, v[24:25], v[26:27] offset1:13
	ds_store_2addr_b64 v54, v[28:29], v[30:31] offset0:26 offset1:39
	ds_store_2addr_b64 v54, v[36:37], v[38:39] offset0:52 offset1:65
	;; [unrolled: 1-line block ×3, first 2 shown]
	ds_store_b64 v54, v[4:5] offset:832
	global_wb scope:SCOPE_SE
	s_wait_dscnt 0x0
	s_barrier_signal -1
	s_barrier_wait -1
	global_inv scope:SCOPE_SE
	s_and_saveexec_b32 s6, vcc_lo
	s_cbranch_execz .LBB0_9
; %bb.8:
	s_add_nc_u64 s[4:5], s[8:9], 0x3a8
	s_clause 0xc
	global_load_b64 v[47:48], v49, s[8:9] offset:936
	global_load_b64 v[76:77], v49, s[4:5] offset:72
	;; [unrolled: 1-line block ×13, first 2 shown]
	ds_load_2addr_b64 v[43:46], v54 offset1:9
	ds_load_2addr_b64 v[56:59], v54 offset0:18 offset1:27
	ds_load_2addr_b64 v[60:63], v54 offset0:36 offset1:45
	ds_load_2addr_b64 v[64:67], v54 offset0:54 offset1:63
	ds_load_2addr_b64 v[68:71], v54 offset0:72 offset1:81
	ds_load_2addr_b64 v[72:75], v54 offset0:90 offset1:99
	ds_load_b64 v[100:101], v54 offset:864
	s_wait_loadcnt_dscnt 0xc06
	v_mul_f32_e32 v102, v44, v48
	s_wait_loadcnt 0xb
	v_dual_mul_f32 v103, v43, v48 :: v_dual_mul_f32 v104, v46, v77
	s_wait_loadcnt_dscnt 0xa05
	v_dual_mul_f32 v48, v45, v77 :: v_dual_mul_f32 v77, v56, v79
	s_wait_loadcnt 0x9
	v_dual_mul_f32 v105, v57, v79 :: v_dual_mul_f32 v106, v59, v81
	s_wait_loadcnt_dscnt 0x804
	v_mul_f32_e32 v107, v61, v83
	v_mul_f32_e32 v79, v58, v81
	s_wait_loadcnt 0x7
	v_dual_mul_f32 v81, v60, v83 :: v_dual_mul_f32 v108, v63, v85
	v_mul_f32_e32 v83, v62, v85
	s_wait_loadcnt_dscnt 0x503
	v_dual_mul_f32 v109, v65, v87 :: v_dual_mul_f32 v110, v67, v89
	s_wait_loadcnt_dscnt 0x302
	v_dual_mul_f32 v85, v64, v87 :: v_dual_mul_f32 v112, v71, v93
	v_mul_f32_e32 v87, v66, v89
	s_wait_loadcnt_dscnt 0x101
	v_dual_mul_f32 v111, v69, v91 :: v_dual_mul_f32 v114, v75, v97
	v_dual_mul_f32 v89, v68, v91 :: v_dual_fmac_f32 v48, v46, v76
	v_mul_f32_e32 v91, v70, v93
	v_mul_f32_e32 v113, v73, v95
	;; [unrolled: 1-line block ×4, first 2 shown]
	s_wait_loadcnt_dscnt 0x0
	v_mul_f32_e32 v115, v101, v99
	v_mul_f32_e32 v97, v100, v99
	v_fma_f32 v102, v43, v47, -v102
	v_fmac_f32_e32 v103, v44, v47
	v_fma_f32 v47, v45, v76, -v104
	v_fma_f32 v76, v56, v78, -v105
	v_fmac_f32_e32 v77, v57, v78
	v_fma_f32 v78, v58, v80, -v106
	v_fmac_f32_e32 v79, v59, v80
	v_fma_f32 v80, v60, v82, -v107
	v_fmac_f32_e32 v81, v61, v82
	v_fma_f32 v82, v62, v84, -v108
	v_fmac_f32_e32 v83, v63, v84
	v_fma_f32 v84, v64, v86, -v109
	v_fmac_f32_e32 v85, v65, v86
	v_fma_f32 v86, v66, v88, -v110
	v_fmac_f32_e32 v87, v67, v88
	v_fma_f32 v88, v68, v90, -v111
	v_fmac_f32_e32 v89, v69, v90
	v_fma_f32 v90, v70, v92, -v112
	v_fmac_f32_e32 v91, v71, v92
	v_fma_f32 v92, v72, v94, -v113
	v_fmac_f32_e32 v93, v73, v94
	v_fma_f32 v94, v74, v96, -v114
	v_fmac_f32_e32 v95, v75, v96
	v_fma_f32 v96, v100, v98, -v115
	v_fmac_f32_e32 v97, v101, v98
	ds_store_2addr_b64 v54, v[102:103], v[47:48] offset1:9
	ds_store_2addr_b64 v54, v[76:77], v[78:79] offset0:18 offset1:27
	ds_store_2addr_b64 v54, v[80:81], v[82:83] offset0:36 offset1:45
	;; [unrolled: 1-line block ×5, first 2 shown]
	ds_store_b64 v54, v[96:97] offset:864
.LBB0_9:
	s_wait_alu 0xfffe
	s_or_b32 exec_lo, exec_lo, s6
	global_wb scope:SCOPE_SE
	s_wait_dscnt 0x0
	s_barrier_signal -1
	s_barrier_wait -1
	global_inv scope:SCOPE_SE
	s_and_saveexec_b32 s4, vcc_lo
	s_cbranch_execz .LBB0_11
; %bb.10:
	ds_load_2addr_b64 v[24:27], v54 offset1:9
	ds_load_2addr_b64 v[28:31], v54 offset0:18 offset1:27
	ds_load_2addr_b64 v[36:39], v54 offset0:36 offset1:45
	;; [unrolled: 1-line block ×5, first 2 shown]
	ds_load_b64 v[41:42], v54 offset:864
.LBB0_11:
	s_wait_alu 0xfffe
	s_or_b32 exec_lo, exec_lo, s4
	global_wb scope:SCOPE_SE
	s_wait_dscnt 0x0
	s_barrier_signal -1
	s_barrier_wait -1
	global_inv scope:SCOPE_SE
	s_and_saveexec_b32 s4, vcc_lo
	s_cbranch_execz .LBB0_13
; %bb.12:
	v_dual_add_f32 v70, v42, v27 :: v_dual_sub_f32 v57, v28, v2
	v_dual_sub_f32 v60, v26, v41 :: v_dual_add_f32 v73, v1, v31
	v_dual_sub_f32 v58, v30, v0 :: v_dual_add_f32 v77, v5, v39
	s_delay_alu instid0(VALU_DEP_3) | instskip(SKIP_1) | instid1(VALU_DEP_4)
	v_dual_mul_f32 v74, 0xbf788fa5, v70 :: v_dual_add_f32 v75, v7, v37
	v_add_f32_e32 v72, v3, v29
	v_dual_mul_f32 v78, 0xbf3f9e67, v73 :: v_dual_add_f32 v61, v41, v26
	s_delay_alu instid0(VALU_DEP_3) | instskip(SKIP_1) | instid1(VALU_DEP_4)
	v_fmamk_f32 v43, v60, 0x3e750f2a, v74
	v_dual_sub_f32 v56, v36, v6 :: v_dual_sub_f32 v59, v38, v4
	v_dual_mul_f32 v76, 0x3f62ad3f, v72 :: v_dual_sub_f32 v79, v27, v42
	s_delay_alu instid0(VALU_DEP_3) | instskip(SKIP_1) | instid1(VALU_DEP_3)
	v_add_f32_e32 v43, v25, v43
	v_dual_mul_f32 v80, 0x3f116cb1, v75 :: v_dual_add_f32 v63, v2, v28
	v_fmamk_f32 v44, v57, 0xbeedf032, v76
	v_dual_fmamk_f32 v45, v58, 0x3f29c268, v78 :: v_dual_sub_f32 v86, v31, v1
	v_sub_f32_e32 v81, v29, v3
	v_mul_f32_e32 v83, 0xbe750f2a, v79
	s_delay_alu instid0(VALU_DEP_4) | instskip(SKIP_1) | instid1(VALU_DEP_4)
	v_dual_add_f32 v43, v44, v43 :: v_dual_mul_f32 v82, 0xbeb58ec6, v77
	v_fmamk_f32 v44, v56, 0xbf52af12, v80
	v_mul_f32_e32 v84, 0x3eedf032, v81
	v_dual_add_f32 v85, v35, v33 :: v_dual_sub_f32 v62, v32, v34
	s_delay_alu instid0(VALU_DEP_4) | instskip(SKIP_2) | instid1(VALU_DEP_4)
	v_add_f32_e32 v43, v45, v43
	v_fmamk_f32 v46, v61, 0xbf788fa5, v83
	v_dual_fmamk_f32 v45, v59, 0x3f6f5d39, v82 :: v_dual_add_f32 v64, v0, v30
	v_dual_mul_f32 v88, 0x3df6dbef, v85 :: v_dual_sub_f32 v89, v37, v7
	s_delay_alu instid0(VALU_DEP_4) | instskip(NEXT) | instid1(VALU_DEP_4)
	v_dual_add_f32 v43, v44, v43 :: v_dual_fmamk_f32 v44, v63, 0x3f62ad3f, v84
	v_dual_add_f32 v46, v24, v46 :: v_dual_sub_f32 v91, v39, v5
	v_add_f32_e32 v65, v6, v36
	s_delay_alu instid0(VALU_DEP_3) | instskip(NEXT) | instid1(VALU_DEP_3)
	v_dual_add_f32 v43, v45, v43 :: v_dual_mul_f32 v92, 0xbf3f9e67, v70
	v_add_f32_e32 v44, v44, v46
	v_fmamk_f32 v46, v62, 0xbf7e222b, v88
	v_mul_f32_e32 v87, 0xbf29c268, v86
	v_dual_add_f32 v67, v4, v38 :: v_dual_sub_f32 v94, v33, v35
	v_dual_mul_f32 v93, 0xbf6f5d39, v91 :: v_dual_add_f32 v66, v34, v32
	s_delay_alu instid0(VALU_DEP_3) | instskip(SKIP_1) | instid1(VALU_DEP_4)
	v_fmamk_f32 v45, v64, 0xbf3f9e67, v87
	v_mul_f32_e32 v90, 0x3f52af12, v89
	v_mul_f32_e32 v96, 0x3f7e222b, v94
	;; [unrolled: 1-line block ×4, first 2 shown]
	v_add_f32_e32 v45, v45, v44
	v_dual_fmamk_f32 v47, v65, 0x3f116cb1, v90 :: v_dual_add_f32 v44, v46, v43
	v_mul_f32_e32 v102, 0xbf52af12, v86
	v_mul_f32_e32 v97, 0x3f116cb1, v73
	;; [unrolled: 1-line block ×3, first 2 shown]
	s_delay_alu instid0(VALU_DEP_4)
	v_add_f32_e32 v43, v47, v45
	v_fmamk_f32 v45, v60, 0x3f29c268, v92
	v_fmamk_f32 v46, v67, 0xbeb58ec6, v93
	v_mul_f32_e32 v109, 0x3f62ad3f, v73
	v_fmamk_f32 v48, v63, 0x3df6dbef, v100
	v_dual_mul_f32 v107, 0xbf3f9e67, v72 :: v_dual_mul_f32 v128, 0xbf3f9e67, v85
	v_dual_add_f32 v45, v25, v45 :: v_dual_mul_f32 v98, 0xbf29c268, v79
	v_add_f32_e32 v43, v46, v43
	v_fmamk_f32 v46, v66, 0x3df6dbef, v96
	v_fmamk_f32 v69, v58, 0xbeedf032, v109
	v_mul_f32_e32 v119, 0xbf788fa5, v72
	v_mul_f32_e32 v118, 0x3e750f2a, v91
	;; [unrolled: 1-line block ×3, first 2 shown]
	v_dual_add_f32 v43, v46, v43 :: v_dual_fmamk_f32 v46, v61, 0xbf3f9e67, v98
	v_mul_f32_e32 v101, 0x3f62ad3f, v77
	v_fmamk_f32 v71, v57, 0x3e750f2a, v119
	v_mul_f32_e32 v111, 0x3df6dbef, v75
	v_mul_f32_e32 v124, 0xbe750f2a, v81
	v_dual_add_f32 v46, v24, v46 :: v_dual_fmamk_f32 v47, v57, 0xbf7e222b, v95
	v_mul_f32_e32 v113, 0xbf788fa5, v77
	v_mul_f32_e32 v115, 0x3f116cb1, v85
	s_delay_alu instid0(VALU_DEP_4) | instskip(NEXT) | instid1(VALU_DEP_4)
	v_fmamk_f32 v126, v63, 0xbf788fa5, v124
	v_add_f32_e32 v46, v48, v46
	v_dual_fmamk_f32 v48, v64, 0x3f116cb1, v102 :: v_dual_add_f32 v45, v47, v45
	v_fmamk_f32 v47, v58, 0x3f52af12, v97
	v_mul_f32_e32 v108, 0xbf6f5d39, v94
	s_delay_alu instid0(VALU_DEP_3)
	v_dual_mul_f32 v103, 0xbeb58ec6, v85 :: v_dual_add_f32 v48, v48, v46
	v_mul_f32_e32 v104, 0x3e750f2a, v89
	v_mul_f32_e32 v99, 0xbf788fa5, v75
	v_add_f32_e32 v45, v47, v45
	v_mul_f32_e32 v117, 0x3df6dbef, v70
	v_mul_f32_e32 v133, 0xbeb58ec6, v72
	v_fmamk_f32 v68, v65, 0xbf788fa5, v104
	v_fmamk_f32 v47, v56, 0xbe750f2a, v99
	v_mul_f32_e32 v127, 0x3f6f5d39, v86
	v_mul_f32_e32 v123, 0x3f62ad3f, v75
	v_fmamk_f32 v134, v57, 0x3f6f5d39, v133
	v_mul_f32_e32 v121, 0xbeb58ec6, v73
	v_add_f32_e32 v45, v47, v45
	v_fmamk_f32 v47, v59, 0xbeedf032, v101
	v_mul_f32_e32 v110, 0xbf6f5d39, v79
	v_mul_f32_e32 v144, 0x3f62ad3f, v70
	v_dual_mul_f32 v129, 0x3eedf032, v89 :: v_dual_mul_f32 v114, 0x3eedf032, v86
	s_delay_alu instid0(VALU_DEP_4) | instskip(SKIP_2) | instid1(VALU_DEP_4)
	v_add_f32_e32 v45, v47, v45
	v_fmamk_f32 v47, v62, 0x3f6f5d39, v103
	v_mul_f32_e32 v105, 0xbeb58ec6, v70
	v_dual_fmamk_f32 v131, v65, 0x3f62ad3f, v129 :: v_dual_mul_f32 v142, 0x3f62ad3f, v85
	v_mul_f32_e32 v132, 0xbf52af12, v91
	s_delay_alu instid0(VALU_DEP_3) | instskip(SKIP_3) | instid1(VALU_DEP_4)
	v_dual_add_f32 v46, v47, v45 :: v_dual_fmamk_f32 v45, v60, 0x3f6f5d39, v105
	v_dual_add_f32 v47, v68, v48 :: v_dual_fmamk_f32 v48, v67, 0x3f62ad3f, v106
	v_fmamk_f32 v68, v57, 0xbf29c268, v107
	v_mul_f32_e32 v125, 0x3f116cb1, v77
	v_add_f32_e32 v45, v25, v45
	v_mul_f32_e32 v141, 0xbe750f2a, v86
	v_dual_add_f32 v47, v48, v47 :: v_dual_fmamk_f32 v48, v66, 0xbeb58ec6, v108
	v_mul_f32_e32 v135, 0xbf788fa5, v73
	s_delay_alu instid0(VALU_DEP_4) | instskip(SKIP_3) | instid1(VALU_DEP_4)
	v_add_f32_e32 v68, v68, v45
	v_mul_f32_e32 v122, 0xbf7e222b, v79
	v_mul_f32_e32 v143, 0x3f29c268, v89
	v_add_f32_e32 v45, v48, v47
	v_dual_fmamk_f32 v137, v58, 0x3e750f2a, v135 :: v_dual_add_f32 v48, v69, v68
	v_fmamk_f32 v69, v63, 0xbf3f9e67, v112
	v_fmamk_f32 v68, v56, 0x3f7e222b, v111
	v_mul_f32_e32 v138, 0xbf3f9e67, v75
	v_mul_f32_e32 v73, 0x3df6dbef, v73
	;; [unrolled: 1-line block ×3, first 2 shown]
	s_delay_alu instid0(VALU_DEP_4)
	v_dual_fmac_f32 v107, 0x3f29c268, v57 :: v_dual_add_f32 v48, v68, v48
	v_fmamk_f32 v68, v59, 0xbe750f2a, v113
	v_mul_f32_e32 v116, 0xbf7e222b, v89
	v_mul_f32_e32 v130, 0x3f116cb1, v70
	;; [unrolled: 1-line block ×3, first 2 shown]
	v_add_f32_e32 v26, v26, v24
	v_add_f32_e32 v48, v68, v48
	v_fmamk_f32 v68, v62, 0xbf52af12, v115
	v_dual_mul_f32 v72, 0x3f116cb1, v72 :: v_dual_add_f32 v27, v27, v25
	s_delay_alu instid0(VALU_DEP_4) | instskip(SKIP_1) | instid1(VALU_DEP_4)
	v_add_f32_e32 v26, v28, v26
	v_fmac_f32_e32 v74, 0xbe750f2a, v60
	v_add_f32_e32 v48, v68, v48
	s_delay_alu instid0(VALU_DEP_4) | instskip(SKIP_3) | instid1(VALU_DEP_4)
	v_dual_fmamk_f32 v68, v60, 0x3f7e222b, v117 :: v_dual_add_f32 v27, v29, v27
	v_fmamk_f32 v146, v57, 0x3f52af12, v72
	v_add_f32_e32 v26, v30, v26
	v_fmac_f32_e32 v76, 0x3eedf032, v57
	v_dual_add_f32 v68, v25, v68 :: v_dual_add_f32 v27, v31, v27
	v_fmac_f32_e32 v78, 0xbf29c268, v58
	s_delay_alu instid0(VALU_DEP_4) | instskip(NEXT) | instid1(VALU_DEP_3)
	v_dual_add_f32 v26, v36, v26 :: v_dual_mul_f32 v75, 0xbeb58ec6, v75
	v_dual_add_f32 v68, v71, v68 :: v_dual_fmamk_f32 v71, v58, 0xbf6f5d39, v121
	s_delay_alu instid0(VALU_DEP_2) | instskip(SKIP_1) | instid1(VALU_DEP_2)
	v_dual_fmamk_f32 v47, v61, 0xbeb58ec6, v110 :: v_dual_add_f32 v26, v38, v26
	v_dual_add_f32 v27, v37, v27 :: v_dual_mul_f32 v36, 0xbf7e222b, v86
	v_dual_add_f32 v68, v71, v68 :: v_dual_add_f32 v47, v24, v47
	v_fmamk_f32 v71, v56, 0xbeedf032, v123
	s_delay_alu instid0(VALU_DEP_4) | instskip(NEXT) | instid1(VALU_DEP_3)
	v_dual_add_f32 v26, v32, v26 :: v_dual_mul_f32 v31, 0xbeedf032, v79
	v_dual_mul_f32 v32, 0xbf6f5d39, v89 :: v_dual_add_f32 v47, v69, v47
	s_delay_alu instid0(VALU_DEP_3) | instskip(NEXT) | instid1(VALU_DEP_3)
	v_add_f32_e32 v68, v71, v68
	v_dual_add_f32 v26, v34, v26 :: v_dual_fmamk_f32 v71, v59, 0x3f52af12, v125
	s_delay_alu instid0(VALU_DEP_4) | instskip(SKIP_1) | instid1(VALU_DEP_3)
	v_dual_fmamk_f32 v69, v64, 0x3f62ad3f, v114 :: v_dual_fmamk_f32 v30, v61, 0x3f62ad3f, v31
	v_mul_f32_e32 v34, 0xbf29c268, v91
	v_add_f32_e32 v4, v4, v26
	s_delay_alu instid0(VALU_DEP_3) | instskip(SKIP_2) | instid1(VALU_DEP_4)
	v_dual_add_f32 v68, v71, v68 :: v_dual_add_f32 v47, v69, v47
	v_fmamk_f32 v69, v65, 0x3df6dbef, v116
	v_fmamk_f32 v71, v62, 0x3f29c268, v128
	v_dual_mul_f32 v37, 0xbf52af12, v81 :: v_dual_add_f32 v4, v6, v4
	s_delay_alu instid0(VALU_DEP_3) | instskip(SKIP_2) | instid1(VALU_DEP_4)
	v_dual_fmac_f32 v92, 0xbf29c268, v60 :: v_dual_add_f32 v47, v69, v47
	v_fmamk_f32 v69, v67, 0xbf788fa5, v118
	v_fma_f32 v31, 0x3f62ad3f, v61, -v31
	v_add_f32_e32 v0, v0, v4
	v_fmac_f32_e32 v80, 0x3f52af12, v56
	s_delay_alu instid0(VALU_DEP_4) | instskip(SKIP_1) | instid1(VALU_DEP_4)
	v_dual_fmac_f32 v88, 0x3f7e222b, v62 :: v_dual_add_f32 v47, v69, v47
	v_mul_f32_e32 v120, 0x3f52af12, v94
	v_add_f32_e32 v0, v2, v0
	v_fmac_f32_e32 v82, 0xbf6f5d39, v59
	v_fmac_f32_e32 v111, 0xbf7e222b, v56
	;; [unrolled: 1-line block ×3, first 2 shown]
	s_delay_alu instid0(VALU_DEP_4) | instskip(SKIP_2) | instid1(VALU_DEP_3)
	v_dual_fmamk_f32 v69, v66, 0x3f116cb1, v120 :: v_dual_add_f32 v0, v41, v0
	v_fmac_f32_e32 v113, 0x3e750f2a, v59
	v_fmac_f32_e32 v128, 0xbf29c268, v62
	v_dual_fmac_f32 v72, 0xbf52af12, v57 :: v_dual_add_f32 v47, v69, v47
	v_fmamk_f32 v69, v61, 0x3df6dbef, v122
	s_delay_alu instid0(VALU_DEP_1) | instskip(NEXT) | instid1(VALU_DEP_1)
	v_add_f32_e32 v69, v24, v69
	v_dual_add_f32 v69, v126, v69 :: v_dual_fmamk_f32 v126, v64, 0xbeb58ec6, v127
	s_delay_alu instid0(VALU_DEP_1) | instskip(SKIP_2) | instid1(VALU_DEP_3)
	v_dual_add_f32 v126, v126, v69 :: v_dual_add_f32 v69, v71, v68
	v_fmamk_f32 v68, v60, 0x3f52af12, v130
	v_fmac_f32_e32 v117, 0xbf7e222b, v60
	v_dual_fmac_f32 v130, 0xbf52af12, v60 :: v_dual_add_f32 v71, v131, v126
	v_fmamk_f32 v126, v67, 0x3f116cb1, v132
	s_delay_alu instid0(VALU_DEP_4) | instskip(NEXT) | instid1(VALU_DEP_2)
	v_dual_mul_f32 v131, 0xbf29c268, v94 :: v_dual_add_f32 v68, v25, v68
	v_add_f32_e32 v71, v126, v71
	s_delay_alu instid0(VALU_DEP_2) | instskip(NEXT) | instid1(VALU_DEP_3)
	v_fmamk_f32 v126, v66, 0xbf3f9e67, v131
	v_add_f32_e32 v134, v134, v68
	s_delay_alu instid0(VALU_DEP_2) | instskip(SKIP_1) | instid1(VALU_DEP_3)
	v_dual_add_f32 v68, v126, v71 :: v_dual_fmamk_f32 v71, v61, 0x3f116cb1, v136
	v_mul_f32_e32 v126, 0xbf6f5d39, v81
	v_dual_add_f32 v134, v137, v134 :: v_dual_fmamk_f32 v137, v56, 0xbf29c268, v138
	s_delay_alu instid0(VALU_DEP_2) | instskip(NEXT) | instid1(VALU_DEP_2)
	v_dual_add_f32 v71, v24, v71 :: v_dual_fmamk_f32 v140, v63, 0xbeb58ec6, v126
	v_dual_add_f32 v134, v137, v134 :: v_dual_fmac_f32 v123, 0x3eedf032, v56
	v_fmac_f32_e32 v121, 0x3f6f5d39, v58
	s_delay_alu instid0(VALU_DEP_3) | instskip(SKIP_1) | instid1(VALU_DEP_1)
	v_add_f32_e32 v71, v140, v71
	v_fmamk_f32 v140, v64, 0xbf788fa5, v141
	v_add_f32_e32 v70, v140, v71
	v_fmamk_f32 v140, v65, 0xbf3f9e67, v143
	s_delay_alu instid0(VALU_DEP_1) | instskip(SKIP_3) | instid1(VALU_DEP_2)
	v_add_f32_e32 v70, v140, v70
	v_mul_f32_e32 v140, 0x3eedf032, v94
	v_mul_f32_e32 v139, 0x3df6dbef, v77
	;; [unrolled: 1-line block ×3, first 2 shown]
	v_fmamk_f32 v137, v59, 0xbf7e222b, v139
	s_delay_alu instid0(VALU_DEP_1) | instskip(NEXT) | instid1(VALU_DEP_1)
	v_dual_add_f32 v134, v137, v134 :: v_dual_fmamk_f32 v137, v62, 0xbeedf032, v142
	v_add_f32_e32 v71, v137, v134
	v_fmamk_f32 v137, v67, 0x3df6dbef, v145
	v_fmac_f32_e32 v138, 0x3f29c268, v56
	s_delay_alu instid0(VALU_DEP_2) | instskip(SKIP_2) | instid1(VALU_DEP_3)
	v_dual_add_f32 v70, v137, v70 :: v_dual_fmamk_f32 v137, v66, 0x3f62ad3f, v140
	v_fmamk_f32 v134, v60, 0x3eedf032, v144
	v_fmac_f32_e32 v144, 0xbeedf032, v60
	v_dual_fmac_f32 v139, 0x3f7e222b, v59 :: v_dual_add_f32 v70, v137, v70
	s_delay_alu instid0(VALU_DEP_3) | instskip(NEXT) | instid1(VALU_DEP_1)
	v_add_f32_e32 v134, v25, v134
	v_add_f32_e32 v134, v146, v134
	v_fmamk_f32 v146, v58, 0x3f7e222b, v73
	s_delay_alu instid0(VALU_DEP_1) | instskip(NEXT) | instid1(VALU_DEP_1)
	v_dual_add_f32 v29, v146, v134 :: v_dual_fmamk_f32 v134, v56, 0x3f6f5d39, v75
	v_dual_add_f32 v28, v134, v29 :: v_dual_fmamk_f32 v29, v59, 0x3f29c268, v77
	s_delay_alu instid0(VALU_DEP_1) | instskip(SKIP_3) | instid1(VALU_DEP_3)
	v_dual_fmac_f32 v77, 0xbf29c268, v59 :: v_dual_add_f32 v28, v29, v28
	v_dual_add_f32 v29, v24, v30 :: v_dual_fmamk_f32 v30, v63, 0x3f116cb1, v37
	v_add_f32_e32 v27, v39, v27
	v_fma_f32 v39, 0xbf788fa5, v63, -v124
	v_add_f32_e32 v29, v30, v29
	s_delay_alu instid0(VALU_DEP_3) | instskip(NEXT) | instid1(VALU_DEP_1)
	v_dual_add_f32 v27, v33, v27 :: v_dual_fmamk_f32 v30, v64, 0x3df6dbef, v36
	v_dual_add_f32 v29, v30, v29 :: v_dual_fmamk_f32 v30, v65, 0xbeb58ec6, v32
	s_delay_alu instid0(VALU_DEP_1) | instskip(NEXT) | instid1(VALU_DEP_1)
	v_dual_add_f32 v27, v35, v27 :: v_dual_add_f32 v26, v30, v29
	v_dual_add_f32 v27, v5, v27 :: v_dual_mul_f32 v30, 0xbe750f2a, v94
	v_fma_f32 v29, 0xbf3f9e67, v63, -v112
	s_delay_alu instid0(VALU_DEP_2) | instskip(SKIP_1) | instid1(VALU_DEP_1)
	v_add_f32_e32 v7, v7, v27
	v_fmamk_f32 v27, v67, 0xbf3f9e67, v34
	v_dual_mul_f32 v33, 0xbf788fa5, v85 :: v_dual_add_f32 v6, v27, v26
	s_delay_alu instid0(VALU_DEP_1) | instskip(NEXT) | instid1(VALU_DEP_4)
	v_fmamk_f32 v35, v62, 0x3e750f2a, v33
	v_add_f32_e32 v1, v1, v7
	v_fmamk_f32 v7, v66, 0xbf788fa5, v30
	v_fma_f32 v26, 0xbeb58ec6, v67, -v93
	v_fma_f32 v30, 0xbf788fa5, v66, -v30
	v_add_f32_e32 v5, v35, v28
	v_fma_f32 v28, 0x3df6dbef, v63, -v100
	v_add_f32_e32 v4, v7, v6
	v_add_f32_e32 v1, v3, v1
	;; [unrolled: 1-line block ×3, first 2 shown]
	v_fma_f32 v6, 0xbf788fa5, v61, -v83
	v_add_f32_e32 v7, v25, v92
	v_fma_f32 v35, 0x3df6dbef, v65, -v116
	s_delay_alu instid0(VALU_DEP_4) | instskip(NEXT) | instid1(VALU_DEP_4)
	v_dual_add_f32 v1, v42, v1 :: v_dual_add_f32 v2, v76, v3
	v_add_f32_e32 v3, v24, v6
	v_fma_f32 v6, 0x3f62ad3f, v63, -v84
	v_fma_f32 v42, 0xbeb58ec6, v63, -v126
	s_delay_alu instid0(VALU_DEP_4) | instskip(NEXT) | instid1(VALU_DEP_3)
	v_add_f32_e32 v2, v78, v2
	v_add_f32_e32 v3, v6, v3
	v_fma_f32 v6, 0xbf3f9e67, v64, -v87
	s_delay_alu instid0(VALU_DEP_3) | instskip(NEXT) | instid1(VALU_DEP_2)
	v_dual_add_f32 v2, v80, v2 :: v_dual_fmac_f32 v95, 0x3f7e222b, v57
	v_add_f32_e32 v3, v6, v3
	v_fma_f32 v6, 0x3f116cb1, v65, -v90
	s_delay_alu instid0(VALU_DEP_3) | instskip(NEXT) | instid1(VALU_DEP_2)
	v_add_f32_e32 v2, v82, v2
	v_dual_fmac_f32 v97, 0xbf52af12, v58 :: v_dual_add_f32 v6, v6, v3
	s_delay_alu instid0(VALU_DEP_2) | instskip(SKIP_1) | instid1(VALU_DEP_3)
	v_add_f32_e32 v3, v88, v2
	v_fma_f32 v2, 0xbf3f9e67, v61, -v98
	v_dual_add_f32 v7, v95, v7 :: v_dual_add_f32 v6, v26, v6
	v_fma_f32 v26, 0x3df6dbef, v66, -v96
	s_delay_alu instid0(VALU_DEP_3) | instskip(NEXT) | instid1(VALU_DEP_3)
	v_add_f32_e32 v27, v24, v2
	v_add_f32_e32 v7, v97, v7
	s_delay_alu instid0(VALU_DEP_3) | instskip(NEXT) | instid1(VALU_DEP_3)
	v_dual_fmac_f32 v105, 0xbf6f5d39, v60 :: v_dual_add_f32 v2, v26, v6
	v_add_f32_e32 v26, v28, v27
	v_fma_f32 v27, 0x3f116cb1, v64, -v102
	s_delay_alu instid0(VALU_DEP_3) | instskip(NEXT) | instid1(VALU_DEP_2)
	v_dual_fmac_f32 v101, 0x3eedf032, v59 :: v_dual_add_f32 v28, v25, v105
	v_dual_add_f32 v26, v27, v26 :: v_dual_fmac_f32 v99, 0x3e750f2a, v56
	v_fma_f32 v27, 0xbf788fa5, v65, -v104
	s_delay_alu instid0(VALU_DEP_3) | instskip(NEXT) | instid1(VALU_DEP_3)
	v_dual_add_f32 v28, v107, v28 :: v_dual_fmac_f32 v103, 0xbf6f5d39, v62
	v_add_f32_e32 v7, v99, v7
	s_delay_alu instid0(VALU_DEP_3) | instskip(SKIP_1) | instid1(VALU_DEP_4)
	v_add_f32_e32 v26, v27, v26
	v_fma_f32 v27, 0x3f62ad3f, v67, -v106
	v_add_f32_e32 v28, v109, v28
	s_delay_alu instid0(VALU_DEP_4) | instskip(NEXT) | instid1(VALU_DEP_3)
	v_add_f32_e32 v6, v101, v7
	v_add_f32_e32 v26, v27, v26
	s_delay_alu instid0(VALU_DEP_3) | instskip(SKIP_1) | instid1(VALU_DEP_4)
	v_add_f32_e32 v28, v111, v28
	v_fma_f32 v27, 0xbeb58ec6, v66, -v108
	v_add_f32_e32 v7, v103, v6
	v_fma_f32 v6, 0xbeb58ec6, v61, -v110
	s_delay_alu instid0(VALU_DEP_1) | instskip(NEXT) | instid1(VALU_DEP_1)
	v_add_f32_e32 v6, v24, v6
	v_add_f32_e32 v6, v29, v6
	v_fma_f32 v29, 0x3f62ad3f, v64, -v114
	s_delay_alu instid0(VALU_DEP_1) | instskip(SKIP_2) | instid1(VALU_DEP_3)
	v_add_f32_e32 v29, v29, v6
	v_add_f32_e32 v6, v27, v26
	v_dual_add_f32 v26, v113, v28 :: v_dual_fmac_f32 v115, 0x3f52af12, v62
	v_add_f32_e32 v28, v35, v29
	v_fma_f32 v29, 0xbf788fa5, v67, -v118
	v_add_f32_e32 v35, v25, v117
	s_delay_alu instid0(VALU_DEP_2) | instskip(SKIP_3) | instid1(VALU_DEP_1)
	v_dual_fmac_f32 v119, 0xbe750f2a, v57 :: v_dual_add_f32 v28, v29, v28
	v_fma_f32 v29, 0x3f116cb1, v66, -v120
	v_add_f32_e32 v27, v115, v26
	v_fma_f32 v26, 0x3df6dbef, v61, -v122
	v_dual_add_f32 v35, v119, v35 :: v_dual_add_f32 v38, v24, v26
	s_delay_alu instid0(VALU_DEP_4) | instskip(NEXT) | instid1(VALU_DEP_2)
	v_add_f32_e32 v26, v29, v28
	v_add_f32_e32 v28, v121, v35
	v_fma_f32 v35, 0xbeb58ec6, v64, -v127
	s_delay_alu instid0(VALU_DEP_4) | instskip(SKIP_1) | instid1(VALU_DEP_4)
	v_add_f32_e32 v29, v39, v38
	v_add_f32_e32 v38, v25, v130
	v_dual_add_f32 v28, v123, v28 :: v_dual_fmac_f32 v125, 0xbf52af12, v59
	v_fmac_f32_e32 v133, 0xbf6f5d39, v57
	s_delay_alu instid0(VALU_DEP_4)
	v_add_f32_e32 v29, v35, v29
	v_fma_f32 v35, 0x3f62ad3f, v65, -v129
	v_fma_f32 v39, 0x3f116cb1, v67, -v132
	v_add_f32_e32 v28, v125, v28
	v_add_f32_e32 v38, v133, v38
	;; [unrolled: 1-line block ×4, first 2 shown]
	s_delay_alu instid0(VALU_DEP_4) | instskip(SKIP_1) | instid1(VALU_DEP_3)
	v_add_f32_e32 v29, v128, v28
	v_fma_f32 v28, 0x3f116cb1, v61, -v136
	v_add_f32_e32 v35, v39, v35
	v_fma_f32 v39, 0xbf3f9e67, v66, -v131
	v_fmac_f32_e32 v135, 0xbe750f2a, v58
	s_delay_alu instid0(VALU_DEP_4)
	v_add_f32_e32 v41, v24, v28
	v_add_f32_e32 v24, v24, v31
	v_fma_f32 v31, 0x3f116cb1, v63, -v37
	v_add_f32_e32 v28, v39, v35
	v_add_f32_e32 v38, v135, v38
	v_fma_f32 v39, 0xbf788fa5, v64, -v141
	s_delay_alu instid0(VALU_DEP_4) | instskip(SKIP_1) | instid1(VALU_DEP_4)
	v_dual_add_f32 v25, v72, v25 :: v_dual_add_f32 v24, v31, v24
	v_fma_f32 v31, 0x3df6dbef, v64, -v36
	v_add_f32_e32 v38, v138, v38
	s_delay_alu instid0(VALU_DEP_2) | instskip(NEXT) | instid1(VALU_DEP_2)
	v_add_f32_e32 v24, v31, v24
	v_dual_add_f32 v35, v139, v38 :: v_dual_add_f32 v38, v42, v41
	v_fma_f32 v31, 0xbeb58ec6, v65, -v32
	s_delay_alu instid0(VALU_DEP_2) | instskip(SKIP_1) | instid1(VALU_DEP_3)
	v_add_f32_e32 v37, v39, v38
	v_fma_f32 v38, 0xbf3f9e67, v65, -v143
	v_dual_fmac_f32 v73, 0xbf7e222b, v58 :: v_dual_add_f32 v24, v31, v24
	v_fma_f32 v31, 0xbf3f9e67, v67, -v34
	s_delay_alu instid0(VALU_DEP_3) | instskip(SKIP_1) | instid1(VALU_DEP_3)
	v_dual_fmac_f32 v33, 0xbe750f2a, v62 :: v_dual_add_f32 v36, v38, v37
	v_fma_f32 v37, 0x3df6dbef, v67, -v145
	v_dual_add_f32 v25, v73, v25 :: v_dual_add_f32 v38, v31, v24
	v_fmac_f32_e32 v75, 0xbf6f5d39, v56
	v_fma_f32 v34, 0x3f62ad3f, v66, -v140
	s_delay_alu instid0(VALU_DEP_4) | instskip(SKIP_3) | instid1(VALU_DEP_3)
	v_add_f32_e32 v32, v37, v36
	v_and_b32_e32 v36, 0xffff, v53
	v_add_f32_e32 v30, v30, v38
	v_dual_fmac_f32 v142, 0x3eedf032, v62 :: v_dual_add_f32 v25, v75, v25
	v_lshl_add_u32 v36, v36, 3, v52
	s_delay_alu instid0(VALU_DEP_2) | instskip(NEXT) | instid1(VALU_DEP_3)
	v_add_f32_e32 v37, v77, v25
	v_add_f32_e32 v25, v142, v35
	s_delay_alu instid0(VALU_DEP_2)
	v_dual_add_f32 v24, v34, v32 :: v_dual_add_f32 v31, v33, v37
	ds_store_2addr_b64 v36, v[0:1], v[4:5] offset1:1
	ds_store_2addr_b64 v36, v[70:71], v[68:69] offset0:2 offset1:3
	ds_store_2addr_b64 v36, v[47:48], v[45:46] offset0:4 offset1:5
	;; [unrolled: 1-line block ×5, first 2 shown]
	ds_store_b64 v36, v[30:31] offset:96
.LBB0_13:
	s_wait_alu 0xfffe
	s_or_b32 exec_lo, exec_lo, s4
	global_wb scope:SCOPE_SE
	s_wait_dscnt 0x0
	s_barrier_signal -1
	s_barrier_wait -1
	global_inv scope:SCOPE_SE
	ds_load_2addr_b64 v[0:3], v55 offset1:13
	ds_load_2addr_b64 v[4:7], v55 offset0:26 offset1:39
	ds_load_2addr_b64 v[24:27], v55 offset0:52 offset1:65
	;; [unrolled: 1-line block ×3, first 2 shown]
	ds_load_b64 v[32:33], v55 offset:832
	s_wait_dscnt 0x3
	v_dual_mul_f32 v34, v21, v3 :: v_dual_mul_f32 v35, v23, v5
	v_dual_mul_f32 v23, v23, v4 :: v_dual_mul_f32 v36, v17, v7
	v_mul_f32_e32 v21, v21, v2
	s_wait_dscnt 0x2
	v_dual_mul_f32 v37, v19, v25 :: v_dual_mul_f32 v38, v13, v27
	v_dual_mul_f32 v19, v19, v24 :: v_dual_fmac_f32 v34, v20, v2
	v_mul_f32_e32 v17, v17, v6
	s_wait_dscnt 0x1
	v_dual_mul_f32 v39, v15, v29 :: v_dual_fmac_f32 v36, v16, v6
	s_wait_dscnt 0x0
	v_mul_f32_e32 v6, v11, v32
	v_fma_f32 v2, v20, v3, -v21
	v_fma_f32 v3, v22, v5, -v23
	v_fmac_f32_e32 v39, v14, v28
	v_dual_fmac_f32 v35, v22, v4 :: v_dual_fmac_f32 v38, v12, v26
	v_fma_f32 v6, v10, v33, -v6
	v_mul_f32_e32 v5, v11, v33
	s_delay_alu instid0(VALU_DEP_2) | instskip(NEXT) | instid1(VALU_DEP_2)
	v_dual_mul_f32 v11, v15, v28 :: v_dual_add_f32 v20, v2, v6
	v_fmac_f32_e32 v5, v10, v32
	v_mul_f32_e32 v13, v13, v26
	s_delay_alu instid0(VALU_DEP_3) | instskip(NEXT) | instid1(VALU_DEP_3)
	v_fma_f32 v10, v14, v29, -v11
	v_sub_f32_e32 v14, v34, v5
	v_fma_f32 v4, v16, v7, -v17
	v_add_f32_e32 v16, v34, v5
	v_fmac_f32_e32 v37, v18, v24
	v_fma_f32 v12, v12, v27, -v13
	v_mul_f32_e32 v13, v9, v31
	v_fma_f32 v7, v18, v25, -v19
	v_sub_f32_e32 v22, v4, v10
	v_sub_f32_e32 v25, v37, v38
	v_dual_sub_f32 v15, v2, v6 :: v_dual_fmamk_f32 v2, v16, 0x3f441b7d, v0
	v_add_f32_e32 v24, v36, v39
	v_fmac_f32_e32 v13, v8, v30
	v_dual_mul_f32 v9, v9, v30 :: v_dual_sub_f32 v26, v7, v12
	v_add_f32_e32 v28, v37, v38
	v_add_f32_e32 v27, v4, v10
	s_delay_alu instid0(VALU_DEP_4) | instskip(NEXT) | instid1(VALU_DEP_4)
	v_sub_f32_e32 v17, v35, v13
	v_fma_f32 v8, v8, v31, -v9
	s_delay_alu instid0(VALU_DEP_4) | instskip(NEXT) | instid1(VALU_DEP_2)
	v_dual_add_f32 v13, v35, v13 :: v_dual_fmamk_f32 v4, v28, 0x3f441b7d, v0
	v_dual_sub_f32 v21, v36, v39 :: v_dual_sub_f32 v18, v3, v8
	s_delay_alu instid0(VALU_DEP_2) | instskip(NEXT) | instid1(VALU_DEP_3)
	v_fmac_f32_e32 v2, 0x3e31d0d4, v13
	v_fmac_f32_e32 v4, 0x3e31d0d4, v16
	v_dual_mul_f32 v10, 0xbf248dbb, v25 :: v_dual_add_f32 v23, v3, v8
	v_mul_f32_e32 v8, 0xbf248dbb, v26
	s_delay_alu instid0(VALU_DEP_4) | instskip(NEXT) | instid1(VALU_DEP_4)
	v_dual_fmac_f32 v2, -0.5, v24 :: v_dual_mul_f32 v19, 0x3f248dbb, v14
	v_fmac_f32_e32 v4, -0.5, v24
	s_delay_alu instid0(VALU_DEP_4) | instskip(NEXT) | instid1(VALU_DEP_4)
	v_fmac_f32_e32 v10, 0x3f7c1c5c, v14
	v_fmac_f32_e32 v8, 0x3f7c1c5c, v15
	s_delay_alu instid0(VALU_DEP_4)
	v_fmac_f32_e32 v2, 0xbf708fb2, v28
	v_fmac_f32_e32 v19, 0x3f7c1c5c, v17
	v_fmac_f32_e32 v4, 0xbf708fb2, v13
	v_add_f32_e32 v30, v26, v15
	v_dual_fmac_f32 v8, 0xbf5db3d7, v22 :: v_dual_add_f32 v29, v7, v12
	v_fmac_f32_e32 v10, 0xbf5db3d7, v21
	s_delay_alu instid0(VALU_DEP_3) | instskip(NEXT) | instid1(VALU_DEP_3)
	v_dual_fmac_f32 v19, 0x3f5db3d7, v21 :: v_dual_sub_f32 v30, v30, v18
	v_fmac_f32_e32 v8, 0x3eaf1d44, v18
	v_dual_mul_f32 v9, 0x3f248dbb, v15 :: v_dual_add_f32 v32, v13, v16
	s_delay_alu instid0(VALU_DEP_3) | instskip(NEXT) | instid1(VALU_DEP_2)
	v_dual_fmac_f32 v19, 0x3eaf1d44, v25 :: v_dual_add_f32 v34, v23, v20
	v_dual_sub_f32 v4, v4, v8 :: v_dual_fmac_f32 v9, 0x3f7c1c5c, v18
	v_add_f32_e32 v11, v25, v14
	v_mul_f32_e32 v25, 0x3f7c1c5c, v25
	v_dual_fmac_f32 v10, 0x3eaf1d44, v17 :: v_dual_add_f32 v35, v28, v32
	s_delay_alu instid0(VALU_DEP_4) | instskip(NEXT) | instid1(VALU_DEP_4)
	v_fmac_f32_e32 v9, 0x3f5db3d7, v22
	v_sub_f32_e32 v31, v11, v17
	s_delay_alu instid0(VALU_DEP_4)
	v_fma_f32 v17, 0xbf248dbb, v17, -v25
	v_fmamk_f32 v5, v29, 0x3f441b7d, v1
	v_fmamk_f32 v13, v13, 0x3f441b7d, v0
	v_fmac_f32_e32 v9, 0x3eaf1d44, v26
	v_fmamk_f32 v3, v20, 0x3f441b7d, v1
	v_fmac_f32_e32 v17, 0x3f5db3d7, v21
	v_add_f32_e32 v21, v27, v34
	v_mul_f32_e32 v26, 0x3f7c1c5c, v26
	s_delay_alu instid0(VALU_DEP_4) | instskip(NEXT) | instid1(VALU_DEP_4)
	v_dual_sub_f32 v2, v2, v9 :: v_dual_fmac_f32 v3, 0x3e31d0d4, v23
	v_dual_fmac_f32 v17, 0x3eaf1d44, v14 :: v_dual_add_f32 v14, v24, v32
	v_fmac_f32_e32 v5, 0x3e31d0d4, v20
	s_delay_alu instid0(VALU_DEP_3) | instskip(SKIP_1) | instid1(VALU_DEP_4)
	v_fma_f32 v6, 2.0, v9, v2
	v_fma_f32 v18, 0xbf248dbb, v18, -v26
	v_dual_fmac_f32 v13, 0x3e31d0d4, v28 :: v_dual_add_f32 v14, v37, v14
	s_delay_alu instid0(VALU_DEP_4) | instskip(SKIP_1) | instid1(VALU_DEP_3)
	v_dual_fmac_f32 v5, -0.5, v27 :: v_dual_add_f32 v36, v29, v34
	v_add_f32_e32 v7, v7, v21
	v_fmac_f32_e32 v13, -0.5, v24
	v_mul_f32_e32 v39, 0x3f5db3d7, v30
	s_delay_alu instid0(VALU_DEP_4) | instskip(SKIP_3) | instid1(VALU_DEP_4)
	v_fmac_f32_e32 v5, 0xbf708fb2, v23
	v_fmamk_f32 v23, v23, 0x3f441b7d, v1
	v_dual_fmac_f32 v18, 0x3f5db3d7, v22 :: v_dual_add_f32 v11, v27, v1
	v_fmac_f32_e32 v13, 0xbf708fb2, v16
	v_add_f32_e32 v5, v10, v5
	s_delay_alu instid0(VALU_DEP_4) | instskip(NEXT) | instid1(VALU_DEP_4)
	v_fmac_f32_e32 v23, 0x3e31d0d4, v29
	v_dual_fmac_f32 v18, 0x3eaf1d44, v15 :: v_dual_fmac_f32 v11, -0.5, v36
	v_add_f32_e32 v15, v38, v14
	s_delay_alu instid0(VALU_DEP_4) | instskip(NEXT) | instid1(VALU_DEP_4)
	v_fma_f32 v9, -2.0, v10, v5
	v_dual_add_f32 v10, v24, v0 :: v_dual_fmac_f32 v23, -0.5, v27
	v_fmac_f32_e32 v3, -0.5, v27
	v_dual_add_f32 v7, v12, v7 :: v_dual_sub_f32 v12, v13, v18
	s_delay_alu instid0(VALU_DEP_3) | instskip(NEXT) | instid1(VALU_DEP_3)
	v_dual_fmac_f32 v10, -0.5, v35 :: v_dual_fmac_f32 v23, 0xbf708fb2, v20
	v_dual_fmac_f32 v3, 0xbf708fb2, v29 :: v_dual_add_f32 v0, v15, v0
	s_delay_alu instid0(VALU_DEP_2) | instskip(SKIP_1) | instid1(VALU_DEP_4)
	v_dual_add_f32 v1, v7, v1 :: v_dual_fmac_f32 v10, 0xbf5db3d7, v30
	v_mul_f32_e32 v33, 0x3f5db3d7, v31
	v_add_f32_e32 v13, v17, v23
	v_fmac_f32_e32 v11, 0x3f5db3d7, v31
	v_add_f32_e32 v3, v19, v3
	v_fma_f32 v16, 2.0, v18, v12
	v_fma_f32 v8, 2.0, v8, v4
	v_fma_f32 v17, -2.0, v17, v13
	v_fma_f32 v14, 2.0, v39, v10
	v_fma_f32 v15, -2.0, v33, v11
	v_fma_f32 v7, -2.0, v19, v3
	ds_store_2addr_b64 v54, v[0:1], v[2:3] offset1:13
	ds_store_2addr_b64 v54, v[4:5], v[10:11] offset0:26 offset1:39
	ds_store_2addr_b64 v54, v[12:13], v[16:17] offset0:52 offset1:65
	;; [unrolled: 1-line block ×3, first 2 shown]
	ds_store_b64 v54, v[6:7] offset:832
	global_wb scope:SCOPE_SE
	s_wait_dscnt 0x0
	s_barrier_signal -1
	s_barrier_wait -1
	global_inv scope:SCOPE_SE
	s_and_b32 exec_lo, exec_lo, vcc_lo
	s_cbranch_execz .LBB0_15
; %bb.14:
	s_clause 0xb
	global_load_b64 v[24:25], v49, s[8:9]
	global_load_b64 v[26:27], v49, s[8:9] offset:72
	global_load_b64 v[28:29], v49, s[8:9] offset:144
	;; [unrolled: 1-line block ×11, first 2 shown]
	v_mad_co_u64_u32 v[12:13], null, s2, v40, 0
	v_mad_co_u64_u32 v[52:53], null, s0, v50, 0
	v_lshl_add_u32 v20, v51, 3, v49
	s_delay_alu instid0(VALU_DEP_3) | instskip(NEXT) | instid1(VALU_DEP_3)
	v_mov_b32_e32 v0, v13
	v_mov_b32_e32 v4, v53
	s_delay_alu instid0(VALU_DEP_2) | instskip(NEXT) | instid1(VALU_DEP_2)
	v_mad_co_u64_u32 v[8:9], null, s3, v40, v[0:1]
	v_mad_co_u64_u32 v[14:15], null, s1, v50, v[4:5]
	ds_load_b64 v[54:55], v54
	ds_load_2addr_b64 v[0:3], v20 offset0:9 offset1:18
	ds_load_2addr_b64 v[4:7], v20 offset0:27 offset1:36
	s_mov_b32 s2, 0x11811812
	s_mov_b32 s3, 0x3f818118
	v_mov_b32_e32 v13, v8
	ds_load_2addr_b64 v[8:11], v20 offset0:45 offset1:54
	v_mov_b32_e32 v53, v14
	s_mul_u64 s[0:1], s[0:1], 0x48
	v_lshlrev_b64_e32 v[50:51], 3, v[12:13]
	ds_load_2addr_b64 v[12:15], v20 offset0:63 offset1:72
	ds_load_2addr_b64 v[16:19], v20 offset0:81 offset1:90
	;; [unrolled: 1-line block ×3, first 2 shown]
	v_lshlrev_b64_e32 v[52:53], 3, v[52:53]
	v_add_co_u32 v56, vcc_lo, s12, v50
	v_add_co_ci_u32_e32 v57, vcc_lo, s13, v51, vcc_lo
	s_delay_alu instid0(VALU_DEP_2) | instskip(SKIP_1) | instid1(VALU_DEP_2)
	v_add_co_u32 v52, vcc_lo, v56, v52
	s_wait_alu 0xfffd
	v_add_co_ci_u32_e32 v53, vcc_lo, v57, v53, vcc_lo
	s_wait_loadcnt_dscnt 0xb06
	v_mul_f32_e32 v40, v55, v25
	s_wait_loadcnt_dscnt 0xa05
	v_dual_mul_f32 v25, v54, v25 :: v_dual_mul_f32 v50, v1, v27
	v_mul_f32_e32 v27, v0, v27
	s_wait_loadcnt_dscnt 0x804
	v_dual_mul_f32 v51, v3, v29 :: v_dual_mul_f32 v58, v5, v31
	s_wait_loadcnt_dscnt 0x603
	v_dual_mul_f32 v29, v2, v29 :: v_dual_mul_f32 v60, v9, v35
	v_mul_f32_e32 v31, v4, v31
	s_wait_loadcnt_dscnt 0x402
	v_dual_mul_f32 v59, v7, v33 :: v_dual_mul_f32 v62, v13, v39
	s_wait_loadcnt_dscnt 0x201
	v_dual_mul_f32 v33, v6, v33 :: v_dual_mul_f32 v64, v17, v44
	v_mul_f32_e32 v35, v8, v35
	v_dual_mul_f32 v39, v12, v39 :: v_dual_fmac_f32 v40, v54, v24
	v_fma_f32 v24, v24, v55, -v25
	v_dual_mul_f32 v61, v11, v37 :: v_dual_mul_f32 v44, v16, v44
	s_wait_loadcnt_dscnt 0x0
	v_dual_mul_f32 v37, v10, v37 :: v_dual_mul_f32 v66, v21, v48
	v_dual_fmac_f32 v50, v0, v26 :: v_dual_fmac_f32 v51, v2, v28
	v_fma_f32 v25, v26, v1, -v27
	v_fma_f32 v26, v28, v3, -v29
	v_dual_mul_f32 v63, v15, v42 :: v_dual_mul_f32 v48, v20, v48
	v_mul_f32_e32 v42, v14, v42
	v_dual_fmac_f32 v58, v4, v30 :: v_dual_fmac_f32 v59, v6, v32
	v_fma_f32 v27, v30, v5, -v31
	v_dual_mul_f32 v65, v19, v46 :: v_dual_fmac_f32 v64, v16, v43
	v_mul_f32_e32 v46, v18, v46
	v_fma_f32 v28, v32, v7, -v33
	v_dual_fmac_f32 v60, v8, v34 :: v_dual_fmac_f32 v61, v10, v36
	v_fma_f32 v29, v34, v9, -v35
	v_cvt_f64_f32_e32 v[0:1], v40
	v_cvt_f64_f32_e32 v[2:3], v24
	v_fma_f32 v30, v36, v11, -v37
	v_cvt_f64_f32_e32 v[4:5], v50
	v_cvt_f64_f32_e32 v[6:7], v25
	v_dual_fmac_f32 v62, v12, v38 :: v_dual_fmac_f32 v63, v14, v41
	v_fma_f32 v32, v38, v13, -v39
	v_cvt_f64_f32_e32 v[8:9], v51
	v_cvt_f64_f32_e32 v[10:11], v26
	v_fma_f32 v36, v41, v15, -v42
	v_cvt_f64_f32_e32 v[12:13], v58
	v_cvt_f64_f32_e32 v[14:15], v27
	v_fma_f32 v41, v43, v17, -v44
	v_dual_fmac_f32 v65, v18, v45 :: v_dual_fmac_f32 v66, v20, v47
	v_fma_f32 v44, v45, v19, -v46
	v_cvt_f64_f32_e32 v[16:17], v59
	v_cvt_f64_f32_e32 v[18:19], v28
	v_fma_f32 v48, v47, v21, -v48
	v_cvt_f64_f32_e32 v[20:21], v60
	v_cvt_f64_f32_e32 v[24:25], v29
	;; [unrolled: 1-line block ×14, first 2 shown]
	s_wait_alu 0xfffe
	v_add_co_u32 v54, vcc_lo, v52, s0
	s_wait_alu 0xfffd
	v_add_co_ci_u32_e32 v55, vcc_lo, s1, v53, vcc_lo
	v_mul_f64_e32 v[0:1], s[2:3], v[0:1]
	v_mul_f64_e32 v[2:3], s[2:3], v[2:3]
	v_add_co_u32 v56, vcc_lo, v54, s0
	v_mul_f64_e32 v[4:5], s[2:3], v[4:5]
	v_mul_f64_e32 v[6:7], s[2:3], v[6:7]
	s_wait_alu 0xfffd
	v_add_co_ci_u32_e32 v57, vcc_lo, s1, v55, vcc_lo
	v_mul_f64_e32 v[8:9], s[2:3], v[8:9]
	v_mul_f64_e32 v[10:11], s[2:3], v[10:11]
	v_add_co_u32 v58, vcc_lo, v56, s0
	v_mul_f64_e32 v[12:13], s[2:3], v[12:13]
	v_mul_f64_e32 v[14:15], s[2:3], v[14:15]
	s_wait_alu 0xfffd
	v_add_co_ci_u32_e32 v59, vcc_lo, s1, v57, vcc_lo
	v_add_co_u32 v60, vcc_lo, v58, s0
	v_mul_f64_e32 v[16:17], s[2:3], v[16:17]
	v_mul_f64_e32 v[18:19], s[2:3], v[18:19]
	;; [unrolled: 1-line block ×16, first 2 shown]
	s_wait_alu 0xfffd
	v_add_co_ci_u32_e32 v61, vcc_lo, s1, v59, vcc_lo
	v_add_co_u32 v62, vcc_lo, v60, s0
	v_cvt_f32_f64_e32 v0, v[0:1]
	v_cvt_f32_f64_e32 v1, v[2:3]
	s_wait_alu 0xfffd
	v_add_co_ci_u32_e32 v63, vcc_lo, s1, v61, vcc_lo
	v_cvt_f32_f64_e32 v2, v[4:5]
	v_cvt_f32_f64_e32 v3, v[6:7]
	;; [unrolled: 1-line block ×22, first 2 shown]
	v_add_co_u32 v26, vcc_lo, v62, s0
	s_wait_alu 0xfffd
	v_add_co_ci_u32_e32 v27, vcc_lo, s1, v63, vcc_lo
	s_delay_alu instid0(VALU_DEP_2) | instskip(SKIP_1) | instid1(VALU_DEP_2)
	v_add_co_u32 v28, vcc_lo, v26, s0
	s_wait_alu 0xfffd
	v_add_co_ci_u32_e32 v29, vcc_lo, s1, v27, vcc_lo
	s_delay_alu instid0(VALU_DEP_2) | instskip(SKIP_1) | instid1(VALU_DEP_2)
	;; [unrolled: 4-line block ×5, first 2 shown]
	v_add_co_u32 v36, vcc_lo, v34, s0
	s_wait_alu 0xfffd
	v_add_co_ci_u32_e32 v37, vcc_lo, s1, v35, vcc_lo
	s_clause 0x4
	global_store_b64 v[52:53], v[0:1], off
	global_store_b64 v[54:55], v[2:3], off
	;; [unrolled: 1-line block ×12, first 2 shown]
	global_load_b64 v[0:1], v49, s[8:9] offset:864
	s_wait_loadcnt 0x0
	v_mul_f32_e32 v2, v23, v1
	v_mul_f32_e32 v1, v22, v1
	s_delay_alu instid0(VALU_DEP_2) | instskip(NEXT) | instid1(VALU_DEP_2)
	v_fmac_f32_e32 v2, v22, v0
	v_fma_f32 v3, v0, v23, -v1
	s_delay_alu instid0(VALU_DEP_2) | instskip(NEXT) | instid1(VALU_DEP_2)
	v_cvt_f64_f32_e32 v[0:1], v2
	v_cvt_f64_f32_e32 v[2:3], v3
	s_delay_alu instid0(VALU_DEP_2) | instskip(NEXT) | instid1(VALU_DEP_2)
	v_mul_f64_e32 v[0:1], s[2:3], v[0:1]
	v_mul_f64_e32 v[2:3], s[2:3], v[2:3]
	s_delay_alu instid0(VALU_DEP_2) | instskip(NEXT) | instid1(VALU_DEP_2)
	v_cvt_f32_f64_e32 v0, v[0:1]
	v_cvt_f32_f64_e32 v1, v[2:3]
	v_add_co_u32 v2, vcc_lo, v36, s0
	s_wait_alu 0xfffd
	v_add_co_ci_u32_e32 v3, vcc_lo, s1, v37, vcc_lo
	global_store_b64 v[2:3], v[0:1], off
.LBB0_15:
	s_nop 0
	s_sendmsg sendmsg(MSG_DEALLOC_VGPRS)
	s_endpgm
	.section	.rodata,"a",@progbits
	.p2align	6, 0x0
	.amdhsa_kernel bluestein_single_back_len117_dim1_sp_op_CI_CI
		.amdhsa_group_segment_fixed_size 3744
		.amdhsa_private_segment_fixed_size 0
		.amdhsa_kernarg_size 104
		.amdhsa_user_sgpr_count 2
		.amdhsa_user_sgpr_dispatch_ptr 0
		.amdhsa_user_sgpr_queue_ptr 0
		.amdhsa_user_sgpr_kernarg_segment_ptr 1
		.amdhsa_user_sgpr_dispatch_id 0
		.amdhsa_user_sgpr_private_segment_size 0
		.amdhsa_wavefront_size32 1
		.amdhsa_uses_dynamic_stack 0
		.amdhsa_enable_private_segment 0
		.amdhsa_system_sgpr_workgroup_id_x 1
		.amdhsa_system_sgpr_workgroup_id_y 0
		.amdhsa_system_sgpr_workgroup_id_z 0
		.amdhsa_system_sgpr_workgroup_info 0
		.amdhsa_system_vgpr_workitem_id 0
		.amdhsa_next_free_vgpr 147
		.amdhsa_next_free_sgpr 14
		.amdhsa_reserve_vcc 1
		.amdhsa_float_round_mode_32 0
		.amdhsa_float_round_mode_16_64 0
		.amdhsa_float_denorm_mode_32 3
		.amdhsa_float_denorm_mode_16_64 3
		.amdhsa_fp16_overflow 0
		.amdhsa_workgroup_processor_mode 1
		.amdhsa_memory_ordered 1
		.amdhsa_forward_progress 0
		.amdhsa_round_robin_scheduling 0
		.amdhsa_exception_fp_ieee_invalid_op 0
		.amdhsa_exception_fp_denorm_src 0
		.amdhsa_exception_fp_ieee_div_zero 0
		.amdhsa_exception_fp_ieee_overflow 0
		.amdhsa_exception_fp_ieee_underflow 0
		.amdhsa_exception_fp_ieee_inexact 0
		.amdhsa_exception_int_div_zero 0
	.end_amdhsa_kernel
	.text
.Lfunc_end0:
	.size	bluestein_single_back_len117_dim1_sp_op_CI_CI, .Lfunc_end0-bluestein_single_back_len117_dim1_sp_op_CI_CI
                                        ; -- End function
	.section	.AMDGPU.csdata,"",@progbits
; Kernel info:
; codeLenInByte = 11900
; NumSgprs: 16
; NumVgprs: 147
; ScratchSize: 0
; MemoryBound: 0
; FloatMode: 240
; IeeeMode: 1
; LDSByteSize: 3744 bytes/workgroup (compile time only)
; SGPRBlocks: 1
; VGPRBlocks: 18
; NumSGPRsForWavesPerEU: 16
; NumVGPRsForWavesPerEU: 147
; Occupancy: 9
; WaveLimiterHint : 1
; COMPUTE_PGM_RSRC2:SCRATCH_EN: 0
; COMPUTE_PGM_RSRC2:USER_SGPR: 2
; COMPUTE_PGM_RSRC2:TRAP_HANDLER: 0
; COMPUTE_PGM_RSRC2:TGID_X_EN: 1
; COMPUTE_PGM_RSRC2:TGID_Y_EN: 0
; COMPUTE_PGM_RSRC2:TGID_Z_EN: 0
; COMPUTE_PGM_RSRC2:TIDIG_COMP_CNT: 0
	.text
	.p2alignl 7, 3214868480
	.fill 96, 4, 3214868480
	.type	__hip_cuid_45cd400a1e4b5dfb,@object ; @__hip_cuid_45cd400a1e4b5dfb
	.section	.bss,"aw",@nobits
	.globl	__hip_cuid_45cd400a1e4b5dfb
__hip_cuid_45cd400a1e4b5dfb:
	.byte	0                               ; 0x0
	.size	__hip_cuid_45cd400a1e4b5dfb, 1

	.ident	"AMD clang version 19.0.0git (https://github.com/RadeonOpenCompute/llvm-project roc-6.4.0 25133 c7fe45cf4b819c5991fe208aaa96edf142730f1d)"
	.section	".note.GNU-stack","",@progbits
	.addrsig
	.addrsig_sym __hip_cuid_45cd400a1e4b5dfb
	.amdgpu_metadata
---
amdhsa.kernels:
  - .args:
      - .actual_access:  read_only
        .address_space:  global
        .offset:         0
        .size:           8
        .value_kind:     global_buffer
      - .actual_access:  read_only
        .address_space:  global
        .offset:         8
        .size:           8
        .value_kind:     global_buffer
      - .actual_access:  read_only
        .address_space:  global
        .offset:         16
        .size:           8
        .value_kind:     global_buffer
      - .actual_access:  read_only
        .address_space:  global
        .offset:         24
        .size:           8
        .value_kind:     global_buffer
      - .actual_access:  read_only
        .address_space:  global
        .offset:         32
        .size:           8
        .value_kind:     global_buffer
      - .offset:         40
        .size:           8
        .value_kind:     by_value
      - .address_space:  global
        .offset:         48
        .size:           8
        .value_kind:     global_buffer
      - .address_space:  global
        .offset:         56
        .size:           8
        .value_kind:     global_buffer
      - .address_space:  global
        .offset:         64
        .size:           8
        .value_kind:     global_buffer
      - .address_space:  global
        .offset:         72
        .size:           8
        .value_kind:     global_buffer
      - .offset:         80
        .size:           4
        .value_kind:     by_value
      - .address_space:  global
        .offset:         88
        .size:           8
        .value_kind:     global_buffer
      - .address_space:  global
        .offset:         96
        .size:           8
        .value_kind:     global_buffer
    .group_segment_fixed_size: 3744
    .kernarg_segment_align: 8
    .kernarg_segment_size: 104
    .language:       OpenCL C
    .language_version:
      - 2
      - 0
    .max_flat_workgroup_size: 52
    .name:           bluestein_single_back_len117_dim1_sp_op_CI_CI
    .private_segment_fixed_size: 0
    .sgpr_count:     16
    .sgpr_spill_count: 0
    .symbol:         bluestein_single_back_len117_dim1_sp_op_CI_CI.kd
    .uniform_work_group_size: 1
    .uses_dynamic_stack: false
    .vgpr_count:     147
    .vgpr_spill_count: 0
    .wavefront_size: 32
    .workgroup_processor_mode: 1
amdhsa.target:   amdgcn-amd-amdhsa--gfx1201
amdhsa.version:
  - 1
  - 2
...

	.end_amdgpu_metadata
